;; amdgpu-corpus repo=ROCm/rocFFT kind=compiled arch=gfx1201 opt=O3
	.text
	.amdgcn_target "amdgcn-amd-amdhsa--gfx1201"
	.amdhsa_code_object_version 6
	.protected	bluestein_single_fwd_len693_dim1_dp_op_CI_CI ; -- Begin function bluestein_single_fwd_len693_dim1_dp_op_CI_CI
	.globl	bluestein_single_fwd_len693_dim1_dp_op_CI_CI
	.p2align	8
	.type	bluestein_single_fwd_len693_dim1_dp_op_CI_CI,@function
bluestein_single_fwd_len693_dim1_dp_op_CI_CI: ; @bluestein_single_fwd_len693_dim1_dp_op_CI_CI
; %bb.0:
	s_load_b128 s[8:11], s[0:1], 0x28
	v_mul_u32_u24_e32 v1, 0x296, v0
	s_mov_b32 s2, exec_lo
	v_mov_b32_e32 v109, 0
	s_delay_alu instid0(VALU_DEP_2) | instskip(NEXT) | instid1(VALU_DEP_1)
	v_lshrrev_b32_e32 v1, 16, v1
	v_add_nc_u32_e32 v108, ttmp9, v1
	s_wait_kmcnt 0x0
	s_delay_alu instid0(VALU_DEP_1)
	v_cmpx_gt_u64_e64 s[8:9], v[108:109]
	s_cbranch_execz .LBB0_23
; %bb.1:
	s_clause 0x1
	s_load_b64 s[12:13], s[0:1], 0x0
	s_load_b64 s[8:9], s[0:1], 0x38
	v_mul_lo_u16 v1, 0x63, v1
	s_delay_alu instid0(VALU_DEP_1) | instskip(NEXT) | instid1(VALU_DEP_1)
	v_sub_nc_u16 v0, v0, v1
	v_and_b32_e32 v190, 0xffff, v0
	v_cmp_gt_u16_e32 vcc_lo, 63, v0
	s_delay_alu instid0(VALU_DEP_2)
	v_lshlrev_b32_e32 v189, 4, v190
	s_and_saveexec_b32 s3, vcc_lo
	s_cbranch_execz .LBB0_3
; %bb.2:
	s_load_b64 s[4:5], s[0:1], 0x18
	s_wait_kmcnt 0x0
	s_load_b128 s[4:7], s[4:5], 0x0
	s_wait_kmcnt 0x0
	v_mad_co_u64_u32 v[8:9], null, s4, v190, 0
	v_mad_co_u64_u32 v[0:1], null, s6, v108, 0
	s_delay_alu instid0(VALU_DEP_2) | instskip(NEXT) | instid1(VALU_DEP_1)
	v_mov_b32_e32 v2, v9
	v_mad_co_u64_u32 v[3:4], null, s7, v108, v[1:2]
	s_delay_alu instid0(VALU_DEP_1) | instskip(SKIP_2) | instid1(VALU_DEP_2)
	v_mov_b32_e32 v1, v3
	v_mad_co_u64_u32 v[4:5], null, s5, v190, v[2:3]
	s_mul_u64 s[4:5], s[4:5], 0x3f0
	v_lshlrev_b64_e32 v[10:11], 4, v[0:1]
	s_delay_alu instid0(VALU_DEP_2) | instskip(SKIP_4) | instid1(VALU_DEP_1)
	v_mov_b32_e32 v9, v4
	s_clause 0x1
	global_load_b128 v[0:3], v189, s[12:13]
	global_load_b128 v[4:7], v189, s[12:13] offset:1008
	v_add_co_u32 v18, s2, s10, v10
	v_add_co_ci_u32_e64 v19, s2, s11, v11, s2
	v_lshlrev_b64_e32 v[16:17], 4, v[8:9]
	s_clause 0x1
	global_load_b128 v[8:11], v189, s[12:13] offset:2016
	global_load_b128 v[12:15], v189, s[12:13] offset:3024
	v_add_co_u32 v32, s2, v18, v16
	s_wait_alu 0xf1ff
	v_add_co_ci_u32_e64 v33, s2, v19, v17, s2
	s_clause 0x1
	global_load_b128 v[16:19], v189, s[12:13] offset:4032
	global_load_b128 v[20:23], v189, s[12:13] offset:5040
	s_wait_alu 0xfffe
	v_add_co_u32 v36, s2, v32, s4
	s_wait_alu 0xf1ff
	v_add_co_ci_u32_e64 v37, s2, s5, v33, s2
	s_clause 0x1
	global_load_b128 v[24:27], v189, s[12:13] offset:6048
	global_load_b128 v[28:31], v189, s[12:13] offset:7056
	v_add_co_u32 v40, s2, v36, s4
	s_wait_alu 0xf1ff
	v_add_co_ci_u32_e64 v41, s2, s5, v37, s2
	s_clause 0x1
	global_load_b128 v[32:35], v[32:33], off
	global_load_b128 v[36:39], v[36:37], off
	v_add_co_u32 v44, s2, v40, s4
	s_wait_alu 0xf1ff
	v_add_co_ci_u32_e64 v45, s2, s5, v41, s2
	s_delay_alu instid0(VALU_DEP_2) | instskip(SKIP_1) | instid1(VALU_DEP_2)
	v_add_co_u32 v48, s2, v44, s4
	s_wait_alu 0xf1ff
	v_add_co_ci_u32_e64 v49, s2, s5, v45, s2
	s_clause 0x1
	global_load_b128 v[40:43], v[40:41], off
	global_load_b128 v[44:47], v[44:45], off
	v_add_co_u32 v52, s2, v48, s4
	s_wait_alu 0xf1ff
	v_add_co_ci_u32_e64 v53, s2, s5, v49, s2
	global_load_b128 v[48:51], v[48:49], off
	v_add_co_u32 v56, s2, v52, s4
	s_wait_alu 0xf1ff
	v_add_co_ci_u32_e64 v57, s2, s5, v53, s2
	;; [unrolled: 4-line block ×6, first 2 shown]
	s_clause 0x1
	global_load_b128 v[68:71], v189, s[12:13] offset:8064
	global_load_b128 v[72:75], v189, s[12:13] offset:9072
	global_load_b128 v[76:79], v[76:77], off
	global_load_b128 v[80:83], v189, s[12:13] offset:10080
	global_load_b128 v[84:87], v[84:85], off
	s_wait_loadcnt 0xd
	v_mul_f64_e32 v[88:89], v[34:35], v[2:3]
	v_mul_f64_e32 v[2:3], v[32:33], v[2:3]
	s_wait_loadcnt 0xc
	v_mul_f64_e32 v[90:91], v[38:39], v[6:7]
	v_mul_f64_e32 v[6:7], v[36:37], v[6:7]
	;; [unrolled: 3-line block ×11, first 2 shown]
	v_fma_f64 v[30:31], v[32:33], v[0:1], v[88:89]
	v_fma_f64 v[32:33], v[34:35], v[0:1], -v[2:3]
	v_fma_f64 v[0:1], v[36:37], v[4:5], v[90:91]
	v_fma_f64 v[2:3], v[38:39], v[4:5], -v[6:7]
	;; [unrolled: 2-line block ×11, first 2 shown]
	ds_store_b128 v189, v[30:33]
	ds_store_b128 v189, v[0:3] offset:1008
	ds_store_b128 v189, v[4:7] offset:2016
	;; [unrolled: 1-line block ×10, first 2 shown]
.LBB0_3:
	s_or_b32 exec_lo, exec_lo, s3
	s_clause 0x1
	s_load_b64 s[4:5], s[0:1], 0x20
	s_load_b64 s[2:3], s[0:1], 0x8
	global_wb scope:SCOPE_SE
	s_wait_dscnt 0x0
	s_wait_kmcnt 0x0
	s_barrier_signal -1
	s_barrier_wait -1
	global_inv scope:SCOPE_SE
                                        ; implicit-def: $vgpr8_vgpr9
                                        ; implicit-def: $vgpr36_vgpr37
                                        ; implicit-def: $vgpr40_vgpr41
                                        ; implicit-def: $vgpr44_vgpr45
                                        ; implicit-def: $vgpr48_vgpr49
                                        ; implicit-def: $vgpr32_vgpr33
                                        ; implicit-def: $vgpr28_vgpr29
                                        ; implicit-def: $vgpr24_vgpr25
                                        ; implicit-def: $vgpr20_vgpr21
                                        ; implicit-def: $vgpr16_vgpr17
                                        ; implicit-def: $vgpr12_vgpr13
	s_and_saveexec_b32 s0, vcc_lo
	s_cbranch_execz .LBB0_5
; %bb.4:
	ds_load_b128 v[8:11], v189
	ds_load_b128 v[36:39], v189 offset:1008
	ds_load_b128 v[40:43], v189 offset:2016
	ds_load_b128 v[44:47], v189 offset:3024
	ds_load_b128 v[48:51], v189 offset:4032
	ds_load_b128 v[32:35], v189 offset:5040
	ds_load_b128 v[28:31], v189 offset:6048
	ds_load_b128 v[24:27], v189 offset:7056
	ds_load_b128 v[20:23], v189 offset:8064
	ds_load_b128 v[16:19], v189 offset:9072
	ds_load_b128 v[12:15], v189 offset:10080
.LBB0_5:
	s_wait_alu 0xfffe
	s_or_b32 exec_lo, exec_lo, s0
	s_wait_dscnt 0x0
	v_add_f64_e64 v[58:59], v[38:39], -v[14:15]
	v_add_f64_e64 v[54:55], v[36:37], -v[12:13]
	s_mov_b32 s6, 0xf8bb580b
	s_mov_b32 s0, 0x8eee2c13
	;; [unrolled: 1-line block ×8, first 2 shown]
	v_add_f64_e32 v[52:53], v[36:37], v[12:13]
	v_add_f64_e32 v[56:57], v[38:39], v[14:15]
	v_add_f64_e64 v[62:63], v[42:43], -v[18:19]
	v_add_f64_e64 v[60:61], v[40:41], -v[16:17]
	s_mov_b32 s22, 0x8764f0ba
	s_mov_b32 s20, 0xd9c712b6
	;; [unrolled: 1-line block ×11, first 2 shown]
	s_wait_alu 0xfffe
	s_mov_b32 s18, s10
	v_add_f64_e32 v[141:142], v[40:41], v[16:17]
	v_add_f64_e32 v[179:180], v[42:43], v[18:19]
	v_add_f64_e64 v[165:166], v[46:47], -v[22:23]
	v_add_f64_e64 v[84:85], v[44:45], -v[20:21]
	s_mov_b32 s28, 0x9bcd5057
	s_mov_b32 s29, 0xbfeeb42a
	;; [unrolled: 1-line block ×4, first 2 shown]
	v_add_f64_e32 v[94:95], v[44:45], v[20:21]
	v_add_f64_e32 v[177:178], v[46:47], v[22:23]
	v_add_f64_e64 v[78:79], v[48:49], -v[24:25]
	v_add_f64_e64 v[129:130], v[50:51], -v[26:27]
	v_mul_f64_e32 v[72:73], s[6:7], v[58:59]
	v_mul_f64_e32 v[74:75], s[6:7], v[54:55]
	;; [unrolled: 1-line block ×8, first 2 shown]
	s_mov_b32 s35, 0xbfd207e7
	s_mov_b32 s34, s30
	v_add_f64_e32 v[90:91], v[48:49], v[24:25]
	v_add_f64_e32 v[173:174], v[50:51], v[26:27]
	v_mul_f64_e32 v[145:146], s[0:1], v[62:63]
	v_mul_f64_e32 v[151:152], s[0:1], v[60:61]
	;; [unrolled: 1-line block ×8, first 2 shown]
	v_add_f64_e64 v[82:83], v[32:33], -v[28:29]
	v_add_f64_e64 v[115:116], v[34:35], -v[30:31]
	s_mov_b32 s37, 0x3fe14ced
	s_mov_b32 s36, s6
	v_add_f64_e32 v[171:172], v[34:35], v[30:31]
	global_wb scope:SCOPE_SE
	s_barrier_signal -1
	s_barrier_wait -1
	v_mul_f64_e32 v[88:89], s[10:11], v[165:166]
	v_mul_f64_e32 v[96:97], s[10:11], v[84:85]
	;; [unrolled: 1-line block ×10, first 2 shown]
	v_fma_f64 v[0:1], v[52:53], s[22:23], v[72:73]
	v_fma_f64 v[2:3], v[56:57], s[22:23], -v[74:75]
	v_fma_f64 v[4:5], v[52:53], s[20:21], v[76:77]
	v_fma_f64 v[6:7], v[56:57], s[20:21], -v[80:81]
	;; [unrolled: 2-line block ×4, first 2 shown]
	v_mul_f64_e32 v[98:99], s[18:19], v[129:130]
	v_mul_f64_e32 v[104:105], s[18:19], v[78:79]
	;; [unrolled: 1-line block ×4, first 2 shown]
	v_fma_f64 v[106:107], v[141:142], s[20:21], v[145:146]
	v_fma_f64 v[113:114], v[179:180], s[20:21], -v[151:152]
	v_fma_f64 v[121:122], v[141:142], s[24:25], v[153:154]
	v_fma_f64 v[123:124], v[179:180], s[24:25], -v[157:158]
	v_fma_f64 v[127:128], v[141:142], s[28:29], v[159:160]
	v_fma_f64 v[133:134], v[179:180], s[28:29], -v[161:162]
	v_fma_f64 v[139:140], v[141:142], s[16:17], v[163:164]
	v_fma_f64 v[149:150], v[179:180], s[16:17], -v[167:168]
	v_mul_f64_e32 v[131:132], s[34:35], v[129:130]
	v_mul_f64_e32 v[143:144], s[34:35], v[78:79]
	;; [unrolled: 1-line block ×3, first 2 shown]
	global_inv scope:SCOPE_SE
	v_fma_f64 v[181:182], v[94:95], s[16:17], v[88:89]
	v_fma_f64 v[183:184], v[177:178], s[16:17], -v[96:97]
	v_fma_f64 v[185:186], v[94:95], s[28:29], v[102:103]
	v_fma_f64 v[187:188], v[177:178], s[28:29], -v[109:110]
	;; [unrolled: 2-line block ×4, first 2 shown]
	v_fma_f64 v[201:202], v[173:174], s[24:25], -v[92:93]
	v_fma_f64 v[199:200], v[90:91], s[24:25], v[86:87]
	v_add_f64_e32 v[0:1], v[8:9], v[0:1]
	v_add_f64_e32 v[2:3], v[10:11], v[2:3]
	v_add_f64_e32 v[4:5], v[8:9], v[4:5]
	v_add_f64_e32 v[6:7], v[10:11], v[6:7]
	v_add_f64_e32 v[64:65], v[8:9], v[64:65]
	v_add_f64_e32 v[66:67], v[10:11], v[66:67]
	v_add_f64_e32 v[68:69], v[8:9], v[68:69]
	v_add_f64_e32 v[70:71], v[10:11], v[70:71]
	v_fma_f64 v[203:204], v[90:91], s[16:17], v[98:99]
	v_fma_f64 v[205:206], v[173:174], s[16:17], -v[104:105]
	v_fma_f64 v[207:208], v[90:91], s[22:23], v[111:112]
	v_fma_f64 v[209:210], v[173:174], s[22:23], -v[119:120]
	;; [unrolled: 2-line block ×3, first 2 shown]
	v_add_f64_e32 v[0:1], v[106:107], v[0:1]
	v_add_f64_e32 v[2:3], v[113:114], v[2:3]
	;; [unrolled: 1-line block ×9, first 2 shown]
	v_mul_f64_e32 v[106:107], s[34:35], v[115:116]
	v_mul_f64_e32 v[113:114], s[34:35], v[82:83]
	;; [unrolled: 1-line block ×7, first 2 shown]
	v_add_f64_e32 v[0:1], v[181:182], v[0:1]
	v_add_f64_e32 v[2:3], v[183:184], v[2:3]
	;; [unrolled: 1-line block ×8, first 2 shown]
	v_fma_f64 v[197:198], v[171:172], s[20:21], -v[155:156]
	v_fma_f64 v[181:182], v[121:122], s[28:29], v[106:107]
	v_fma_f64 v[183:184], v[171:172], s[28:29], -v[113:114]
	v_fma_f64 v[185:186], v[121:122], s[22:23], v[123:124]
	;; [unrolled: 2-line block ×4, first 2 shown]
	v_add_f64_e32 v[0:1], v[199:200], v[0:1]
	v_add_f64_e32 v[2:3], v[201:202], v[2:3]
	;; [unrolled: 1-line block ×16, first 2 shown]
	v_mul_lo_u16 v191, v190, 11
	s_and_saveexec_b32 s33, vcc_lo
	s_cbranch_execz .LBB0_7
; %bb.6:
	v_add_f64_e32 v[38:39], v[10:11], v[38:39]
	v_add_f64_e32 v[36:37], v[8:9], v[36:37]
	v_mul_f64_e32 v[181:182], s[20:21], v[52:53]
	v_mul_f64_e32 v[183:184], s[16:17], v[52:53]
	;; [unrolled: 1-line block ×13, first 2 shown]
	v_add_f64_e32 v[38:39], v[38:39], v[42:43]
	v_add_f64_e32 v[36:37], v[36:37], v[40:41]
	v_mul_f64_e32 v[40:41], s[28:29], v[56:57]
	v_mul_f64_e32 v[42:43], s[34:35], v[58:59]
	;; [unrolled: 1-line block ×3, first 2 shown]
	v_add_f64_e32 v[161:162], v[161:162], v[194:195]
	v_add_f64_e32 v[157:158], v[157:158], v[198:199]
	v_add_f64_e64 v[153:154], v[200:201], -v[153:154]
	v_add_f64_e64 v[159:160], v[196:197], -v[159:160]
	;; [unrolled: 1-line block ×4, first 2 shown]
	v_add_f64_e32 v[38:39], v[38:39], v[46:47]
	v_add_f64_e32 v[36:37], v[36:37], v[44:45]
	v_mul_f64_e32 v[46:47], s[16:17], v[56:57]
	v_mul_f64_e32 v[44:45], s[24:25], v[56:57]
	;; [unrolled: 1-line block ×3, first 2 shown]
	v_fma_f64 v[204:205], v[54:55], s[30:31], v[40:41]
	v_fma_f64 v[206:207], v[52:53], s[28:29], v[42:43]
	;; [unrolled: 1-line block ×3, first 2 shown]
	v_add_f64_e32 v[54:55], v[80:81], v[58:59]
	v_add_f64_e64 v[58:59], v[181:182], -v[76:77]
	v_add_f64_e64 v[76:77], v[183:184], -v[100:101]
	;; [unrolled: 1-line block ×3, first 2 shown]
	v_fma_f64 v[42:43], v[52:53], s[28:29], -v[42:43]
	v_mul_f64_e32 v[100:101], s[22:23], v[177:178]
	v_mul_f64_e32 v[169:170], s[20:21], v[94:95]
	;; [unrolled: 1-line block ×5, first 2 shown]
	v_add_f64_e32 v[38:39], v[38:39], v[50:51]
	v_add_f64_e32 v[36:37], v[36:37], v[48:49]
	v_mul_f64_e32 v[48:49], s[22:23], v[52:53]
	v_mul_f64_e32 v[50:51], s[22:23], v[179:180]
	;; [unrolled: 1-line block ×3, first 2 shown]
	v_add_f64_e32 v[46:47], v[135:136], v[46:47]
	v_add_f64_e32 v[44:45], v[175:176], v[44:45]
	;; [unrolled: 1-line block ×3, first 2 shown]
	v_mul_f64_e32 v[56:57], s[24:25], v[177:178]
	v_mul_f64_e32 v[74:75], s[28:29], v[94:95]
	;; [unrolled: 1-line block ×4, first 2 shown]
	v_add_f64_e32 v[40:41], v[10:11], v[40:41]
	v_add_f64_e32 v[54:55], v[10:11], v[54:55]
	v_add_f64_e32 v[58:59], v[8:9], v[58:59]
	v_add_f64_e32 v[76:77], v[8:9], v[76:77]
	v_add_f64_e32 v[80:81], v[8:9], v[80:81]
	v_add_f64_e32 v[42:43], v[8:9], v[42:43]
	v_add_f64_e64 v[117:118], v[169:170], -v[117:118]
	v_add_f64_e32 v[119:120], v[119:120], v[183:184]
	v_add_f64_e64 v[111:112], v[181:182], -v[111:112]
	v_add_f64_e32 v[34:35], v[38:39], v[34:35]
	v_add_f64_e32 v[32:33], v[36:37], v[32:33]
	v_add_f64_e64 v[36:37], v[48:49], -v[72:73]
	v_mul_f64_e32 v[38:39], s[16:17], v[94:95]
	v_mul_f64_e32 v[48:49], s[16:17], v[177:178]
	;; [unrolled: 1-line block ×3, first 2 shown]
	v_fma_f64 v[177:178], v[60:61], s[6:7], v[50:51]
	v_fma_f64 v[50:51], v[60:61], s[36:37], v[50:51]
	;; [unrolled: 1-line block ×3, first 2 shown]
	v_fma_f64 v[62:63], v[141:142], s[22:23], -v[62:63]
	v_add_f64_e32 v[141:142], v[167:168], v[187:188]
	v_add_f64_e32 v[151:152], v[151:152], v[179:180]
	;; [unrolled: 1-line block ×5, first 2 shown]
	v_mul_f64_e32 v[165:166], s[22:23], v[94:95]
	v_add_f64_e32 v[44:45], v[10:11], v[44:45]
	v_add_f64_e32 v[10:11], v[10:11], v[52:53]
	s_mov_b32 s7, 0x3fe82f19
	s_mov_b32 s6, s14
	v_mul_f64_e32 v[52:53], s[16:17], v[173:174]
	s_wait_alu 0xfffe
	v_fma_f64 v[192:193], v[84:85], s[6:7], v[56:57]
	v_fma_f64 v[56:57], v[84:85], s[14:15], v[56:57]
	v_add_f64_e32 v[109:110], v[109:110], v[175:176]
	v_add_f64_e64 v[74:75], v[74:75], -v[102:103]
	v_add_f64_e32 v[125:126], v[125:126], v[135:136]
	v_mul_f64_e32 v[187:188], s[28:29], v[90:91]
	v_mul_f64_e32 v[102:103], s[24:25], v[171:172]
	;; [unrolled: 1-line block ×3, first 2 shown]
	v_add_f64_e32 v[30:31], v[34:35], v[30:31]
	v_add_f64_e32 v[28:29], v[32:33], v[28:29]
	;; [unrolled: 1-line block ×3, first 2 shown]
	v_mul_f64_e32 v[32:33], s[24:25], v[90:91]
	v_mul_f64_e32 v[36:37], s[16:17], v[90:91]
	v_fma_f64 v[84:85], v[94:95], s[24:25], v[72:73]
	v_add_f64_e64 v[38:39], v[38:39], -v[88:89]
	v_add_f64_e32 v[40:41], v[50:51], v[40:41]
	v_add_f64_e32 v[50:51], v[157:158], v[54:55]
	;; [unrolled: 1-line block ×4, first 2 shown]
	v_mul_f64_e32 v[34:35], s[24:25], v[173:174]
	v_add_f64_e32 v[88:89], v[177:178], v[167:168]
	v_add_f64_e32 v[60:61], v[60:61], v[179:180]
	;; [unrolled: 1-line block ×3, first 2 shown]
	v_mul_f64_e32 v[173:174], s[28:29], v[173:174]
	v_fma_f64 v[72:73], v[94:95], s[24:25], -v[72:73]
	v_add_f64_e32 v[94:95], v[147:148], v[100:101]
	v_add_f64_e64 v[100:101], v[165:166], -v[137:138]
	v_add_f64_e32 v[44:45], v[141:142], v[44:45]
	v_add_f64_e32 v[76:77], v[163:164], v[80:81]
	;; [unrolled: 1-line block ×5, first 2 shown]
	v_mul_f64_e32 v[62:63], s[22:23], v[121:122]
	v_mul_f64_e32 v[80:81], s[22:23], v[171:172]
	;; [unrolled: 1-line block ×3, first 2 shown]
	v_fma_f64 v[147:148], v[90:91], s[20:21], v[129:130]
	v_add_f64_e32 v[52:53], v[104:105], v[52:53]
	v_mul_f64_e32 v[96:97], s[24:25], v[121:122]
	v_mul_f64_e32 v[137:138], s[20:21], v[171:172]
	v_fma_f64 v[90:91], v[90:91], s[20:21], -v[129:130]
	v_add_f64_e64 v[131:132], v[187:188], -v[131:132]
	v_add_f64_e32 v[26:27], v[30:31], v[26:27]
	v_add_f64_e32 v[24:25], v[28:29], v[24:25]
	;; [unrolled: 1-line block ×3, first 2 shown]
	v_mul_f64_e32 v[28:29], s[28:29], v[121:122]
	v_mul_f64_e32 v[30:31], s[28:29], v[171:172]
	v_fma_f64 v[145:146], v[78:79], s[0:1], v[185:186]
	v_add_f64_e64 v[36:37], v[36:37], -v[98:99]
	v_add_f64_e64 v[32:33], v[32:33], -v[86:87]
	v_add_f64_e32 v[50:51], v[109:110], v[50:51]
	v_add_f64_e32 v[54:55], v[74:75], v[54:55]
	v_add_f64_e32 v[40:41], v[56:57], v[40:41]
	v_add_f64_e32 v[56:57], v[117:118], v[58:59]
	v_add_f64_e32 v[86:87], v[192:193], v[88:89]
	v_add_f64_e32 v[60:61], v[84:85], v[60:61]
	v_add_f64_e32 v[46:47], v[125:126], v[46:47]
	v_add_f64_e32 v[129:130], v[143:144], v[173:174]
	v_fma_f64 v[78:79], v[78:79], s[26:27], v[185:186]
	v_add_f64_e32 v[34:35], v[92:93], v[34:35]
	v_add_f64_e64 v[74:75], v[135:136], -v[149:150]
	v_add_f64_e32 v[44:45], v[94:95], v[44:45]
	v_add_f64_e32 v[58:59], v[100:101], v[76:77]
	;; [unrolled: 1-line block ×5, first 2 shown]
	v_add_f64_e64 v[62:63], v[62:63], -v[123:124]
	v_add_f64_e32 v[80:81], v[127:128], v[80:81]
	v_fma_f64 v[48:49], v[121:122], s[16:17], -v[115:116]
	v_add_f64_e32 v[72:73], v[155:156], v[137:138]
	v_add_f64_e32 v[22:23], v[26:27], v[22:23]
	;; [unrolled: 1-line block ×4, first 2 shown]
	v_fma_f64 v[24:25], v[82:83], s[18:19], v[141:142]
	v_fma_f64 v[26:27], v[121:122], s[16:17], v[115:116]
	v_add_f64_e32 v[84:85], v[113:114], v[30:31]
	v_add_f64_e64 v[88:89], v[28:29], -v[106:107]
	v_fma_f64 v[38:39], v[82:83], s[10:11], v[141:142]
	v_add_f64_e32 v[50:51], v[52:53], v[50:51]
	v_add_f64_e32 v[36:37], v[36:37], v[54:55]
	v_add_f64_e64 v[82:83], v[96:97], -v[133:134]
	v_add_f64_e32 v[52:53], v[111:112], v[56:57]
	v_add_f64_e32 v[28:29], v[145:146], v[86:87]
	;; [unrolled: 1-line block ×22, first 2 shown]
	v_and_b32_e32 v36, 0xffff, v191
	v_add_f64_e32 v[34:35], v[84:85], v[34:35]
	s_delay_alu instid0(VALU_DEP_2)
	v_lshlrev_b32_e32 v36, 4, v36
	v_add_f64_e32 v[14:15], v[56:57], v[14:15]
	v_add_f64_e32 v[12:13], v[58:59], v[12:13]
	;; [unrolled: 1-line block ×3, first 2 shown]
	ds_store_b128 v36, v[68:71] offset:128
	ds_store_b128 v36, v[4:7] offset:144
	;; [unrolled: 1-line block ×8, first 2 shown]
	ds_store_b128 v36, v[12:15]
	ds_store_b128 v36, v[32:35] offset:16
	ds_store_b128 v36, v[0:3] offset:160
.LBB0_7:
	s_or_b32 exec_lo, exec_lo, s33
	v_and_b32_e32 v8, 0xff, v190
	s_load_b128 s[4:7], s[4:5], 0x0
	global_wb scope:SCOPE_SE
	s_wait_dscnt 0x0
	s_wait_kmcnt 0x0
	s_barrier_signal -1
	s_barrier_wait -1
	v_mul_lo_u16 v8, 0x75, v8
	global_inv scope:SCOPE_SE
	s_mov_b32 s0, 0x37e14327
	s_mov_b32 s1, 0x3fe948f6
	;; [unrolled: 1-line block ×3, first 2 shown]
	v_lshrrev_b16 v8, 8, v8
	s_mov_b32 s14, 0xe976ee23
	s_mov_b32 s11, 0x3fac98ee
	;; [unrolled: 1-line block ×4, first 2 shown]
	v_sub_nc_u16 v9, v190, v8
	s_mov_b32 s16, 0x5476071b
	s_mov_b32 s19, 0x3fd5d0dc
	;; [unrolled: 1-line block ×3, first 2 shown]
	s_delay_alu instid0(VALU_DEP_1) | instskip(NEXT) | instid1(VALU_DEP_1)
	v_lshrrev_b16 v9, 1, v9
	v_and_b32_e32 v9, 0x7f, v9
	s_delay_alu instid0(VALU_DEP_1) | instskip(NEXT) | instid1(VALU_DEP_1)
	v_add_nc_u16 v8, v9, v8
	v_lshrrev_b16 v100, 3, v8
	s_delay_alu instid0(VALU_DEP_1) | instskip(NEXT) | instid1(VALU_DEP_1)
	v_mul_lo_u16 v8, v100, 11
	v_sub_nc_u16 v8, v190, v8
	s_delay_alu instid0(VALU_DEP_1) | instskip(NEXT) | instid1(VALU_DEP_1)
	v_and_b32_e32 v101, 0xff, v8
	v_mul_u32_u24_e32 v8, 6, v101
	s_delay_alu instid0(VALU_DEP_1)
	v_lshlrev_b32_e32 v16, 4, v8
	s_clause 0x5
	global_load_b128 v[12:15], v16, s[2:3]
	global_load_b128 v[8:11], v16, s[2:3] offset:16
	global_load_b128 v[20:23], v16, s[2:3] offset:80
	;; [unrolled: 1-line block ×5, first 2 shown]
	ds_load_b128 v[16:19], v189 offset:1584
	ds_load_b128 v[36:39], v189 offset:3168
	;; [unrolled: 1-line block ×6, first 2 shown]
	s_wait_loadcnt_dscnt 0x505
	v_mul_f64_e32 v[56:57], v[18:19], v[14:15]
	v_mul_f64_e32 v[58:59], v[16:17], v[14:15]
	s_wait_loadcnt_dscnt 0x404
	v_mul_f64_e32 v[60:61], v[38:39], v[10:11]
	v_mul_f64_e32 v[62:63], v[36:37], v[10:11]
	;; [unrolled: 3-line block ×6, first 2 shown]
	v_fma_f64 v[16:17], v[16:17], v[12:13], -v[56:57]
	v_fma_f64 v[18:19], v[18:19], v[12:13], v[58:59]
	v_fma_f64 v[36:37], v[36:37], v[8:9], -v[60:61]
	v_fma_f64 v[38:39], v[38:39], v[8:9], v[62:63]
	;; [unrolled: 2-line block ×6, first 2 shown]
	v_add_f64_e32 v[56:57], v[16:17], v[40:41]
	v_add_f64_e32 v[58:59], v[18:19], v[42:43]
	;; [unrolled: 1-line block ×4, first 2 shown]
	v_add_f64_e64 v[36:37], v[36:37], -v[44:45]
	v_add_f64_e64 v[38:39], v[38:39], -v[46:47]
	v_add_f64_e32 v[72:73], v[48:49], v[52:53]
	v_add_f64_e32 v[74:75], v[50:51], v[54:55]
	v_add_f64_e64 v[44:45], v[52:53], -v[48:49]
	v_add_f64_e64 v[46:47], v[54:55], -v[50:51]
	;; [unrolled: 1-line block ×4, first 2 shown]
	v_add_f64_e32 v[16:17], v[60:61], v[56:57]
	v_add_f64_e32 v[18:19], v[62:63], v[58:59]
	v_add_f64_e64 v[48:49], v[56:57], -v[72:73]
	v_add_f64_e64 v[50:51], v[58:59], -v[74:75]
	;; [unrolled: 1-line block ×10, first 2 shown]
	v_add_f64_e32 v[36:37], v[44:45], v[36:37]
	v_add_f64_e32 v[38:39], v[46:47], v[38:39]
	v_add_f64_e64 v[44:45], v[40:41], -v[44:45]
	v_add_f64_e64 v[46:47], v[42:43], -v[46:47]
	v_add_f64_e32 v[84:85], v[72:73], v[16:17]
	v_add_f64_e32 v[86:87], v[74:75], v[18:19]
	ds_load_b128 v[16:19], v189
	global_wb scope:SCOPE_SE
	s_wait_dscnt 0x0
	s_wait_alu 0xfffe
	v_mul_f64_e32 v[48:49], s[0:1], v[48:49]
	v_mul_f64_e32 v[50:51], s[0:1], v[50:51]
	s_mov_b32 s0, 0x429ad128
	v_mul_f64_e32 v[60:61], s[10:11], v[52:53]
	v_mul_f64_e32 v[62:63], s[10:11], v[54:55]
	;; [unrolled: 1-line block ×4, first 2 shown]
	s_mov_b32 s1, 0x3febfeb5
	s_mov_b32 s14, 0xaaaaaaaa
	s_wait_alu 0xfffe
	v_mul_f64_e32 v[88:89], s[0:1], v[80:81]
	v_mul_f64_e32 v[90:91], s[0:1], v[82:83]
	s_mov_b32 s15, 0xbff2aaaa
	s_barrier_signal -1
	s_barrier_wait -1
	global_inv scope:SCOPE_SE
	v_add_f64_e32 v[72:73], v[16:17], v[84:85]
	v_add_f64_e32 v[74:75], v[18:19], v[86:87]
	;; [unrolled: 1-line block ×4, first 2 shown]
	v_fma_f64 v[36:37], v[52:53], s[10:11], v[48:49]
	v_fma_f64 v[38:39], v[54:55], s[10:11], v[50:51]
	v_fma_f64 v[40:41], v[56:57], s[16:17], -v[60:61]
	v_fma_f64 v[42:43], v[58:59], s[16:17], -v[62:63]
	s_mov_b32 s17, 0xbfe77f67
	v_fma_f64 v[52:53], v[44:45], s[18:19], v[76:77]
	v_fma_f64 v[54:55], v[46:47], s[18:19], v[78:79]
	s_mov_b32 s19, 0xbfd5d0dc
	v_fma_f64 v[60:61], v[80:81], s[0:1], -v[76:77]
	v_fma_f64 v[62:63], v[82:83], s[0:1], -v[78:79]
	s_wait_alu 0xfffe
	v_fma_f64 v[44:45], v[44:45], s[18:19], -v[88:89]
	v_fma_f64 v[46:47], v[46:47], s[18:19], -v[90:91]
	;; [unrolled: 1-line block ×4, first 2 shown]
	s_mov_b32 s0, 0x37c3f68c
	s_mov_b32 s1, 0x3fdc38aa
	v_fma_f64 v[76:77], v[84:85], s[14:15], v[72:73]
	v_fma_f64 v[78:79], v[86:87], s[14:15], v[74:75]
	s_wait_alu 0xfffe
	v_fma_f64 v[52:53], v[16:17], s[0:1], v[52:53]
	v_fma_f64 v[54:55], v[18:19], s[0:1], v[54:55]
	;; [unrolled: 1-line block ×6, first 2 shown]
	v_cmp_gt_u16_e64 s0, 0x4d, v190
	v_add_f64_e32 v[36:37], v[36:37], v[76:77]
	v_add_f64_e32 v[38:39], v[38:39], v[78:79]
	;; [unrolled: 1-line block ×7, first 2 shown]
	v_add_f64_e64 v[86:87], v[38:39], -v[52:53]
	v_add_f64_e32 v[88:89], v[18:19], v[44:45]
	v_add_f64_e64 v[90:91], v[46:47], -v[16:17]
	v_add_f64_e64 v[76:77], v[40:41], -v[58:59]
	v_add_f64_e32 v[78:79], v[56:57], v[42:43]
	v_add_f64_e32 v[92:93], v[58:59], v[40:41]
	v_add_f64_e64 v[94:95], v[42:43], -v[56:57]
	v_add_f64_e64 v[96:97], v[44:45], -v[18:19]
	v_add_f64_e32 v[98:99], v[16:17], v[46:47]
	v_add_f64_e64 v[80:81], v[36:37], -v[54:55]
	v_add_f64_e32 v[82:83], v[52:53], v[38:39]
	v_and_b32_e32 v16, 0xffff, v100
	s_delay_alu instid0(VALU_DEP_1) | instskip(NEXT) | instid1(VALU_DEP_1)
	v_mul_u32_u24_e32 v16, 0x4d, v16
	v_add_lshl_u32 v192, v16, v101, 4
	ds_store_b128 v192, v[72:75]
	ds_store_b128 v192, v[84:87] offset:176
	ds_store_b128 v192, v[88:91] offset:352
	;; [unrolled: 1-line block ×6, first 2 shown]
	global_wb scope:SCOPE_SE
	s_wait_dscnt 0x0
	s_barrier_signal -1
	s_barrier_wait -1
	global_inv scope:SCOPE_SE
	s_and_saveexec_b32 s1, s0
	s_cbranch_execz .LBB0_9
; %bb.8:
	ds_load_b128 v[72:75], v189
	ds_load_b128 v[84:87], v189 offset:1232
	ds_load_b128 v[88:91], v189 offset:2464
	;; [unrolled: 1-line block ×8, first 2 shown]
.LBB0_9:
	s_wait_alu 0xfffe
	s_or_b32 exec_lo, exec_lo, s1
	v_lshlrev_b32_e32 v16, 3, v190
	s_mov_b32 s10, 0x8c811c17
	s_mov_b32 s14, 0xa2cf5039
	s_mov_b32 s11, 0x3fef838b
	s_mov_b32 s15, 0x3fe8836f
	v_add_co_u32 v18, s1, 0xfffffd98, v16
	s_wait_alu 0xf1ff
	v_add_co_ci_u32_e64 v17, null, 0, -1, s1
	s_mov_b32 s16, 0x42522d1b
	s_delay_alu instid0(VALU_DEP_2) | instskip(SKIP_1) | instid1(VALU_DEP_2)
	v_cndmask_b32_e64 v16, v18, v16, s0
	s_mov_b32 s17, 0xbfee11f6
	v_cndmask_b32_e64 v17, v17, 0, s0
	s_delay_alu instid0(VALU_DEP_1) | instskip(NEXT) | instid1(VALU_DEP_1)
	v_lshlrev_b64_e32 v[16:17], 4, v[16:17]
	v_add_co_u32 v40, s1, s2, v16
	s_wait_alu 0xf1ff
	s_delay_alu instid0(VALU_DEP_2)
	v_add_co_ci_u32_e64 v41, s1, s3, v17, s1
	s_mov_b32 s3, 0x3fe491b7
	s_mov_b32 s2, 0x523c161c
	s_clause 0x7
	global_load_b128 v[16:19], v[40:41], off offset:1056
	global_load_b128 v[44:47], v[40:41], off offset:1168
	;; [unrolled: 1-line block ×8, first 2 shown]
	s_wait_loadcnt_dscnt 0x707
	v_mul_f64_e32 v[100:101], v[86:87], v[18:19]
	v_mul_f64_e32 v[102:103], v[84:85], v[18:19]
	s_wait_loadcnt_dscnt 0x600
	v_mul_f64_e32 v[104:105], v[70:71], v[46:47]
	v_mul_f64_e32 v[106:107], v[68:69], v[46:47]
	s_wait_loadcnt 0x5
	v_mul_f64_e32 v[109:110], v[94:95], v[50:51]
	v_mul_f64_e32 v[111:112], v[92:93], v[50:51]
	s_wait_loadcnt 0x4
	;; [unrolled: 3-line block ×3, first 2 shown]
	v_mul_f64_e32 v[117:118], v[90:91], v[54:55]
	s_wait_loadcnt 0x2
	v_mul_f64_e32 v[119:120], v[66:67], v[58:59]
	v_mul_f64_e32 v[121:122], v[88:89], v[54:55]
	;; [unrolled: 1-line block ×3, first 2 shown]
	v_fma_f64 v[84:85], v[84:85], v[16:17], -v[100:101]
	v_fma_f64 v[86:87], v[86:87], v[16:17], v[102:103]
	v_fma_f64 v[68:69], v[68:69], v[44:45], -v[104:105]
	v_fma_f64 v[70:71], v[70:71], v[44:45], v[106:107]
	;; [unrolled: 2-line block ×4, first 2 shown]
	v_fma_f64 v[88:89], v[88:89], v[52:53], -v[117:118]
	v_fma_f64 v[64:65], v[64:65], v[56:57], -v[119:120]
	v_fma_f64 v[90:91], v[90:91], v[52:53], v[121:122]
	v_fma_f64 v[66:67], v[66:67], v[56:57], v[123:124]
	s_wait_loadcnt 0x1
	v_mul_f64_e32 v[96:97], v[78:79], v[38:39]
	v_mul_f64_e32 v[98:99], v[76:77], v[38:39]
	s_wait_loadcnt 0x0
	v_mul_f64_e32 v[104:105], v[82:83], v[42:43]
	v_mul_f64_e32 v[106:107], v[80:81], v[42:43]
	v_add_f64_e64 v[109:110], v[84:85], -v[68:69]
	v_add_f64_e64 v[111:112], v[86:87], -v[70:71]
	v_add_f64_e32 v[68:69], v[84:85], v[68:69]
	v_add_f64_e32 v[70:71], v[86:87], v[70:71]
	;; [unrolled: 1-line block ×4, first 2 shown]
	v_add_f64_e64 v[113:114], v[92:93], -v[100:101]
	v_add_f64_e64 v[115:116], v[94:95], -v[102:103]
	v_add_f64_e32 v[117:118], v[88:89], v[64:65]
	v_add_f64_e32 v[119:120], v[90:91], v[66:67]
	v_add_f64_e64 v[64:65], v[88:89], -v[64:65]
	v_add_f64_e64 v[66:67], v[90:91], -v[66:67]
	v_fma_f64 v[76:77], v[76:77], v[36:37], -v[96:97]
	v_fma_f64 v[78:79], v[78:79], v[36:37], v[98:99]
	v_fma_f64 v[80:81], v[80:81], v[40:41], -v[104:105]
	v_fma_f64 v[82:83], v[82:83], v[40:41], v[106:107]
	s_wait_alu 0xfffe
	v_mul_f64_e32 v[88:89], s[2:3], v[109:110]
	v_mul_f64_e32 v[90:91], s[2:3], v[111:112]
	s_mov_b32 s3, 0xbfe491b7
	v_fma_f64 v[96:97], v[68:69], s[14:15], v[72:73]
	v_fma_f64 v[98:99], v[70:71], s[14:15], v[74:75]
	;; [unrolled: 1-line block ×4, first 2 shown]
	v_mul_f64_e32 v[121:122], s[10:11], v[113:114]
	v_mul_f64_e32 v[123:124], s[10:11], v[115:116]
	v_fma_f64 v[125:126], v[117:118], s[14:15], v[72:73]
	s_wait_alu 0xfffe
	v_mul_f64_e32 v[127:128], s[2:3], v[115:116]
	v_mul_f64_e32 v[129:130], s[2:3], v[113:114]
	v_fma_f64 v[131:132], v[119:120], s[14:15], v[74:75]
	s_mov_b32 s14, 0x7e0b738b
	s_mov_b32 s15, 0x3fc63a1a
	v_add_f64_e32 v[133:134], v[76:77], v[80:81]
	v_add_f64_e32 v[135:136], v[78:79], v[82:83]
	;; [unrolled: 1-line block ×4, first 2 shown]
	v_add_f64_e64 v[76:77], v[76:77], -v[80:81]
	v_add_f64_e64 v[78:79], v[78:79], -v[82:83]
	v_fma_f64 v[80:81], v[64:65], s[10:11], v[88:89]
	v_fma_f64 v[82:83], v[66:67], s[10:11], v[90:91]
	s_wait_alu 0xfffe
	v_fma_f64 v[88:89], v[117:118], s[14:15], v[96:97]
	v_fma_f64 v[90:91], v[119:120], s[14:15], v[98:99]
	;; [unrolled: 1-line block ×4, first 2 shown]
	v_fma_f64 v[104:105], v[64:65], s[2:3], -v[121:122]
	v_fma_f64 v[106:107], v[66:67], s[2:3], -v[123:124]
	v_fma_f64 v[121:122], v[84:85], s[14:15], v[125:126]
	v_fma_f64 v[123:124], v[111:112], s[10:11], v[127:128]
	;; [unrolled: 1-line block ×4, first 2 shown]
	s_mov_b32 s2, 0xe8584cab
	s_mov_b32 s3, 0x3febb67a
	;; [unrolled: 1-line block ×3, first 2 shown]
	s_wait_alu 0xfffe
	s_mov_b32 s10, s2
	v_add_f64_e32 v[129:130], v[113:114], v[109:110]
	v_add_f64_e32 v[131:132], v[115:116], v[111:112]
	;; [unrolled: 1-line block ×8, first 2 shown]
	s_mov_b32 s14, 0x748a0bf8
	s_mov_b32 s15, 0x3fd5e3a8
	v_fma_f64 v[80:81], v[76:77], s[2:3], v[80:81]
	v_fma_f64 v[82:83], v[78:79], s[2:3], v[82:83]
	v_fma_f64 v[88:89], v[133:134], -0.5, v[88:89]
	v_fma_f64 v[90:91], v[135:136], -0.5, v[90:91]
	;; [unrolled: 1-line block ×4, first 2 shown]
	v_fma_f64 v[104:105], v[76:77], s[2:3], v[104:105]
	v_fma_f64 v[106:107], v[78:79], s[2:3], v[106:107]
	v_fma_f64 v[121:122], v[133:134], -0.5, v[121:122]
	s_wait_alu 0xfffe
	v_fma_f64 v[78:79], v[78:79], s[10:11], v[123:124]
	v_fma_f64 v[76:77], v[76:77], s[10:11], v[125:126]
	v_fma_f64 v[123:124], v[135:136], -0.5, v[127:128]
	v_add_f64_e64 v[125:126], v[129:130], -v[64:65]
	v_add_f64_e64 v[127:128], v[131:132], -v[66:67]
	v_fma_f64 v[129:130], v[145:146], -0.5, v[141:142]
	v_fma_f64 v[131:132], v[147:148], -0.5, v[143:144]
	v_add_f64_e32 v[92:93], v[92:93], v[137:138]
	v_add_f64_e32 v[94:95], v[94:95], v[139:140]
	v_fma_f64 v[80:81], v[113:114], s[14:15], v[80:81]
	v_fma_f64 v[82:83], v[115:116], s[14:15], v[82:83]
	;; [unrolled: 1-line block ×12, first 2 shown]
	v_mul_f64_e32 v[66:67], s[2:3], v[125:126]
	v_mul_f64_e32 v[70:71], s[2:3], v[127:128]
	v_fma_f64 v[96:97], v[127:128], s[2:3], v[129:130]
	v_fma_f64 v[98:99], v[125:126], s[10:11], v[131:132]
	v_add_f64_e32 v[100:101], v[100:101], v[92:93]
	v_add_f64_e32 v[102:103], v[102:103], v[94:95]
	;; [unrolled: 1-line block ×3, first 2 shown]
	v_add_f64_e64 v[86:87], v[86:87], -v[80:81]
	v_add_f64_e32 v[88:89], v[106:107], v[68:69]
	v_add_f64_e32 v[92:93], v[109:110], v[90:91]
	v_add_f64_e64 v[94:95], v[113:114], -v[111:112]
	v_add_f64_e64 v[90:91], v[64:65], -v[104:105]
	v_fma_f64 v[76:77], v[70:71], -2.0, v[96:97]
	v_fma_f64 v[78:79], v[66:67], 2.0, v[98:99]
	v_add_f64_e32 v[64:65], v[72:73], v[100:101]
	v_add_f64_e32 v[66:67], v[74:75], v[102:103]
	v_fma_f64 v[68:69], v[82:83], -2.0, v[84:85]
	v_fma_f64 v[70:71], v[80:81], 2.0, v[86:87]
	v_fma_f64 v[80:81], v[106:107], -2.0, v[88:89]
	v_fma_f64 v[72:73], v[109:110], -2.0, v[92:93]
	v_fma_f64 v[74:75], v[111:112], 2.0, v[94:95]
	v_fma_f64 v[82:83], v[104:105], 2.0, v[90:91]
	s_and_saveexec_b32 s1, s0
	s_cbranch_execz .LBB0_11
; %bb.10:
	ds_store_b128 v189, v[64:67]
	ds_store_b128 v189, v[84:87] offset:1232
	ds_store_b128 v189, v[92:95] offset:2464
	;; [unrolled: 1-line block ×8, first 2 shown]
.LBB0_11:
	s_wait_alu 0xfffe
	s_or_b32 exec_lo, exec_lo, s1
	global_wb scope:SCOPE_SE
	s_wait_dscnt 0x0
	s_barrier_signal -1
	s_barrier_wait -1
	global_inv scope:SCOPE_SE
	s_and_saveexec_b32 s1, vcc_lo
	s_cbranch_execz .LBB0_13
; %bb.12:
	s_add_nc_u64 s[2:3], s[12:13], 0x2b50
	s_clause 0xa
	global_load_b128 v[100:103], v189, s[12:13] offset:11088
	global_load_b128 v[104:107], v189, s[2:3] offset:1008
	;; [unrolled: 1-line block ×11, first 2 shown]
	ds_load_b128 v[145:148], v189
	ds_load_b128 v[149:152], v189 offset:1008
	ds_load_b128 v[153:156], v189 offset:2016
	;; [unrolled: 1-line block ×10, first 2 shown]
	s_wait_loadcnt_dscnt 0xa0a
	v_mul_f64_e32 v[193:194], v[147:148], v[102:103]
	v_mul_f64_e32 v[102:103], v[145:146], v[102:103]
	s_wait_loadcnt_dscnt 0x909
	v_mul_f64_e32 v[195:196], v[151:152], v[106:107]
	v_mul_f64_e32 v[106:107], v[149:150], v[106:107]
	;; [unrolled: 3-line block ×11, first 2 shown]
	v_fma_f64 v[143:144], v[145:146], v[100:101], -v[193:194]
	v_fma_f64 v[145:146], v[147:148], v[100:101], v[102:103]
	v_fma_f64 v[100:101], v[149:150], v[104:105], -v[195:196]
	v_fma_f64 v[102:103], v[151:152], v[104:105], v[106:107]
	;; [unrolled: 2-line block ×11, first 2 shown]
	ds_store_b128 v189, v[143:146]
	ds_store_b128 v189, v[100:103] offset:1008
	ds_store_b128 v189, v[104:107] offset:2016
	;; [unrolled: 1-line block ×10, first 2 shown]
.LBB0_13:
	s_wait_alu 0xfffe
	s_or_b32 exec_lo, exec_lo, s1
	global_wb scope:SCOPE_SE
	s_wait_dscnt 0x0
	s_barrier_signal -1
	s_barrier_wait -1
	global_inv scope:SCOPE_SE
	s_and_saveexec_b32 s1, vcc_lo
	s_cbranch_execz .LBB0_15
; %bb.14:
	ds_load_b128 v[64:67], v189
	ds_load_b128 v[84:87], v189 offset:1008
	ds_load_b128 v[92:95], v189 offset:2016
	;; [unrolled: 1-line block ×10, first 2 shown]
.LBB0_15:
	s_wait_alu 0xfffe
	s_or_b32 exec_lo, exec_lo, s1
	s_wait_dscnt 0x0
	v_add_f64_e64 v[137:138], v[86:87], -v[2:3]
	v_add_f64_e32 v[111:112], v[86:87], v[2:3]
	s_mov_b32 s2, 0x640f44db
	s_mov_b32 s22, 0x43842ef
	;; [unrolled: 1-line block ×8, first 2 shown]
	v_add_f64_e32 v[109:110], v[84:85], v[0:1]
	v_add_f64_e64 v[139:140], v[84:85], -v[0:1]
	v_add_f64_e64 v[155:156], v[94:95], -v[6:7]
	v_add_f64_e32 v[119:120], v[94:95], v[6:7]
	s_mov_b32 s10, 0x9bcd5057
	s_mov_b32 s26, 0xfd768dbf
	;; [unrolled: 1-line block ×5, first 2 shown]
	s_wait_alu 0xfffe
	s_mov_b32 s24, s22
	v_add_f64_e32 v[125:126], v[92:93], v[4:5]
	v_add_f64_e64 v[171:172], v[92:93], -v[4:5]
	v_add_f64_e64 v[167:168], v[98:99], -v[70:71]
	v_add_f64_e32 v[115:116], v[98:99], v[70:71]
	s_mov_b32 s16, 0x8764f0ba
	s_mov_b32 s34, 0xf8bb580b
	;; [unrolled: 1-line block ×6, first 2 shown]
	v_add_f64_e32 v[123:124], v[96:97], v[68:69]
	v_add_f64_e64 v[185:186], v[96:97], -v[68:69]
	v_add_f64_e32 v[117:118], v[90:91], v[74:75]
	v_add_f64_e64 v[179:180], v[90:91], -v[74:75]
	s_mov_b32 s29, 0xbfd207e7
	s_mov_b32 s28, s26
	v_add_f64_e32 v[127:128], v[88:89], v[72:73]
	v_add_f64_e64 v[187:188], v[88:89], -v[72:73]
	v_mul_f64_e32 v[141:142], s[22:23], v[137:138]
	v_mul_f64_e32 v[145:146], s[2:3], v[111:112]
	v_mul_f64_e32 v[149:150], s[18:19], v[137:138]
	v_mul_f64_e32 v[153:154], s[14:15], v[111:112]
	v_add_f64_e32 v[113:114], v[82:83], v[78:79]
	v_add_f64_e64 v[159:160], v[82:83], -v[78:79]
	v_add_f64_e64 v[183:184], v[80:81], -v[76:77]
	global_wb scope:SCOPE_SE
	s_barrier_signal -1
	s_barrier_wait -1
	global_inv scope:SCOPE_SE
	v_mul_f64_e32 v[165:166], s[26:27], v[155:156]
	v_mul_f64_e32 v[173:174], s[10:11], v[119:120]
	s_wait_alu 0xfffe
	v_mul_f64_e32 v[177:178], s[24:25], v[155:156]
	v_mul_f64_e32 v[181:182], s[2:3], v[119:120]
	;; [unrolled: 1-line block ×10, first 2 shown]
	v_fma_f64 v[100:101], v[109:110], s[2:3], -v[141:142]
	v_fma_f64 v[102:103], v[139:140], s[22:23], v[145:146]
	v_fma_f64 v[104:105], v[109:110], s[14:15], -v[149:150]
	v_fma_f64 v[106:107], v[139:140], s[18:19], v[153:154]
	v_mul_f64_e32 v[135:136], s[20:21], v[113:114]
	v_fma_f64 v[121:122], v[125:126], s[10:11], -v[165:166]
	v_fma_f64 v[129:130], v[171:172], s[26:27], v[173:174]
	v_fma_f64 v[131:132], v[125:126], s[2:3], -v[177:178]
	v_fma_f64 v[133:134], v[171:172], s[24:25], v[181:182]
	;; [unrolled: 2-line block ×4, first 2 shown]
	v_fma_f64 v[203:204], v[187:188], s[34:35], v[147:148]
	v_fma_f64 v[201:202], v[127:128], s[16:17], -v[143:144]
	v_fma_f64 v[205:206], v[127:128], s[10:11], -v[151:152]
	v_fma_f64 v[207:208], v[187:188], s[28:29], v[157:158]
	v_add_f64_e32 v[100:101], v[64:65], v[100:101]
	v_add_f64_e32 v[102:103], v[66:67], v[102:103]
	;; [unrolled: 1-line block ×4, first 2 shown]
	s_delay_alu instid0(VALU_DEP_4) | instskip(NEXT) | instid1(VALU_DEP_4)
	v_add_f64_e32 v[100:101], v[121:122], v[100:101]
	v_add_f64_e32 v[102:103], v[129:130], v[102:103]
	s_delay_alu instid0(VALU_DEP_4) | instskip(NEXT) | instid1(VALU_DEP_4)
	v_add_f64_e32 v[104:105], v[131:132], v[104:105]
	v_add_f64_e32 v[106:107], v[133:134], v[106:107]
	;; [unrolled: 1-line block ×3, first 2 shown]
	v_mul_f64_e32 v[129:130], s[18:19], v[159:160]
	v_mul_f64_e32 v[131:132], s[14:15], v[113:114]
	;; [unrolled: 1-line block ×3, first 2 shown]
	v_add_f64_e32 v[100:101], v[193:194], v[100:101]
	v_add_f64_e32 v[102:103], v[195:196], v[102:103]
	;; [unrolled: 1-line block ×4, first 2 shown]
	v_fma_f64 v[199:200], v[183:184], s[30:31], v[135:136]
	v_fma_f64 v[193:194], v[121:122], s[14:15], -v[129:130]
	v_fma_f64 v[195:196], v[183:184], s[18:19], v[131:132]
	v_fma_f64 v[197:198], v[121:122], s[20:21], -v[133:134]
	v_add_f64_e32 v[100:101], v[201:202], v[100:101]
	v_add_f64_e32 v[102:103], v[203:204], v[102:103]
	;; [unrolled: 1-line block ×4, first 2 shown]
	s_delay_alu instid0(VALU_DEP_4) | instskip(NEXT) | instid1(VALU_DEP_4)
	v_add_f64_e32 v[100:101], v[193:194], v[100:101]
	v_add_f64_e32 v[102:103], v[195:196], v[102:103]
	s_delay_alu instid0(VALU_DEP_4) | instskip(NEXT) | instid1(VALU_DEP_4)
	v_add_f64_e32 v[104:105], v[197:198], v[104:105]
	v_add_f64_e32 v[106:107], v[199:200], v[106:107]
	s_and_saveexec_b32 s1, vcc_lo
	s_cbranch_execz .LBB0_17
; %bb.16:
	v_add_f64_e32 v[86:87], v[66:67], v[86:87]
	v_add_f64_e32 v[84:85], v[64:65], v[84:85]
	v_mul_f64_e32 v[195:196], s[28:29], v[139:140]
	v_mul_f64_e32 v[197:198], s[28:29], v[137:138]
	;; [unrolled: 1-line block ×6, first 2 shown]
	s_mov_b32 s31, 0xbfed1bb4
	v_mul_f64_e32 v[209:210], s[34:35], v[139:140]
	v_mul_f64_e32 v[213:214], s[34:35], v[137:138]
	s_wait_alu 0xfffe
	v_mul_f64_e32 v[137:138], s[30:31], v[137:138]
	v_mul_f64_e32 v[221:222], s[34:35], v[187:188]
	;; [unrolled: 1-line block ×19, first 2 shown]
	v_add_f64_e32 v[86:87], v[86:87], v[94:95]
	v_add_f64_e32 v[84:85], v[84:85], v[92:93]
	v_mul_f64_e32 v[92:93], s[2:3], v[109:110]
	v_mul_f64_e32 v[94:95], s[22:23], v[139:140]
	v_fma_f64 v[249:250], v[111:112], s[10:11], v[195:196]
	v_fma_f64 v[251:252], v[109:110], s[10:11], -v[197:198]
	v_fma_f64 v[195:196], v[111:112], s[10:11], -v[195:196]
	v_fma_f64 v[197:198], v[109:110], s[10:11], v[197:198]
	v_add_f64_e64 v[163:164], v[163:164], -v[201:202]
	v_add_f64_e64 v[147:148], v[147:148], -v[221:222]
	v_add_f64_e32 v[177:178], v[211:212], v[177:178]
	v_add_f64_e64 v[181:182], v[181:182], -v[215:216]
	v_add_f64_e32 v[165:166], v[193:194], v[165:166]
	v_add_f64_e64 v[173:174], v[173:174], -v[199:200]
	v_fma_f64 v[199:200], v[119:120], s[14:15], -v[231:232]
	v_fma_f64 v[193:194], v[125:126], s[14:15], -v[233:234]
	v_fma_f64 v[211:212], v[125:126], s[14:15], v[233:234]
	v_add_f64_e32 v[161:162], v[217:218], v[161:162]
	v_add_f64_e32 v[151:152], v[223:224], v[151:152]
	v_add_f64_e64 v[157:158], v[157:158], -v[225:226]
	v_add_f64_e32 v[143:144], v[219:220], v[143:144]
	v_add_f64_e32 v[133:134], v[235:236], v[133:134]
	v_add_f64_e64 v[131:132], v[131:132], -v[229:230]
	v_add_f64_e32 v[129:130], v[227:228], v[129:130]
	v_add_f64_e32 v[86:87], v[86:87], v[98:99]
	;; [unrolled: 1-line block ×3, first 2 shown]
	v_mul_f64_e32 v[96:97], s[14:15], v[109:110]
	v_mul_f64_e32 v[98:99], s[18:19], v[139:140]
	;; [unrolled: 1-line block ×3, first 2 shown]
	v_add_f64_e64 v[94:95], v[145:146], -v[94:95]
	v_add_f64_e32 v[92:93], v[92:93], v[141:142]
	v_fma_f64 v[145:146], v[111:112], s[16:17], -v[209:210]
	v_fma_f64 v[141:142], v[111:112], s[16:17], v[209:210]
	v_fma_f64 v[209:210], v[109:110], s[20:21], v[137:138]
	v_fma_f64 v[137:138], v[109:110], s[20:21], -v[137:138]
	v_add_f64_e32 v[195:196], v[66:67], v[195:196]
	v_add_f64_e32 v[197:198], v[64:65], v[197:198]
	;; [unrolled: 1-line block ×4, first 2 shown]
	v_mul_f64_e32 v[90:91], s[34:35], v[185:186]
	s_mov_b32 s35, 0x3fe14ced
	v_add_f64_e64 v[98:99], v[153:154], -v[98:99]
	v_add_f64_e32 v[96:97], v[96:97], v[149:150]
	s_wait_alu 0xfffe
	v_mul_f64_e32 v[237:238], s[34:35], v[171:172]
	v_mul_f64_e32 v[239:240], s[34:35], v[155:156]
	v_mul_f64_e32 v[171:172], s[30:31], v[171:172]
	v_mul_f64_e32 v[155:156], s[30:31], v[155:156]
	v_fma_f64 v[149:150], v[109:110], s[16:17], v[213:214]
	v_fma_f64 v[153:154], v[111:112], s[20:21], -v[139:140]
	v_fma_f64 v[111:112], v[111:112], s[20:21], v[139:140]
	v_mul_f64_e32 v[88:89], s[16:17], v[123:124]
	v_mul_f64_e32 v[139:140], s[22:23], v[185:186]
	v_add_f64_e32 v[94:95], v[66:67], v[94:95]
	v_add_f64_e32 v[92:93], v[64:65], v[92:93]
	;; [unrolled: 1-line block ×7, first 2 shown]
	v_fma_f64 v[84:85], v[109:110], s[16:17], -v[213:214]
	v_mul_f64_e32 v[86:87], s[26:27], v[185:186]
	v_add_f64_e32 v[98:99], v[66:67], v[98:99]
	v_add_f64_e32 v[96:97], v[64:65], v[96:97]
	v_mul_f64_e32 v[109:110], s[26:27], v[167:168]
	v_mul_f64_e32 v[167:168], s[22:23], v[167:168]
	v_fma_f64 v[185:186], v[119:120], s[14:15], v[231:232]
	v_fma_f64 v[213:214], v[119:120], s[16:17], v[237:238]
	v_fma_f64 v[215:216], v[125:126], s[16:17], -v[239:240]
	v_fma_f64 v[231:232], v[119:120], s[16:17], -v[237:238]
	v_fma_f64 v[233:234], v[125:126], s[16:17], v[239:240]
	v_fma_f64 v[237:238], v[119:120], s[20:21], v[171:172]
	v_fma_f64 v[239:240], v[125:126], s[20:21], -v[155:156]
	v_fma_f64 v[119:120], v[119:120], s[20:21], -v[171:172]
	v_fma_f64 v[125:126], v[125:126], s[20:21], v[155:156]
	v_add_f64_e32 v[155:156], v[66:67], v[249:250]
	v_add_f64_e32 v[171:172], v[64:65], v[251:252]
	;; [unrolled: 1-line block ×6, first 2 shown]
	v_add_f64_e64 v[90:91], v[175:176], -v[90:91]
	v_add_f64_e32 v[88:89], v[88:89], v[169:170]
	v_mul_f64_e32 v[137:138], s[18:19], v[179:180]
	v_fma_f64 v[201:202], v[115:116], s[2:3], v[139:140]
	v_add_f64_e32 v[94:95], v[173:174], v[94:95]
	v_add_f64_e32 v[92:93], v[165:166], v[92:93]
	v_fma_f64 v[165:166], v[117:118], s[20:21], v[205:206]
	v_fma_f64 v[173:174], v[127:128], s[20:21], -v[207:208]
	v_add_f64_e32 v[78:79], v[82:83], v[78:79]
	v_add_f64_e32 v[76:77], v[80:81], v[76:77]
	v_add_f64_e32 v[64:65], v[64:65], v[84:85]
	v_mul_f64_e32 v[80:81], s[24:25], v[187:188]
	v_add_f64_e32 v[98:99], v[181:182], v[98:99]
	v_add_f64_e32 v[96:97], v[177:178], v[96:97]
	v_mul_f64_e32 v[82:83], s[24:25], v[179:180]
	v_mul_f64_e32 v[84:85], s[18:19], v[187:188]
	v_fma_f64 v[179:180], v[115:116], s[14:15], v[243:244]
	v_fma_f64 v[187:188], v[123:124], s[14:15], -v[247:248]
	v_fma_f64 v[243:244], v[115:116], s[14:15], -v[243:244]
	v_fma_f64 v[247:248], v[123:124], s[14:15], v[247:248]
	v_fma_f64 v[169:170], v[115:116], s[10:11], v[86:87]
	v_fma_f64 v[175:176], v[123:124], s[10:11], -v[109:110]
	v_fma_f64 v[86:87], v[115:116], s[10:11], -v[86:87]
	v_fma_f64 v[109:110], v[123:124], s[10:11], v[109:110]
	v_fma_f64 v[217:218], v[123:124], s[2:3], -v[167:168]
	v_fma_f64 v[115:116], v[115:116], s[2:3], -v[139:140]
	v_fma_f64 v[123:124], v[123:124], s[2:3], v[167:168]
	v_add_f64_e32 v[139:140], v[213:214], v[155:156]
	v_add_f64_e32 v[155:156], v[215:216], v[171:172]
	;; [unrolled: 1-line block ×11, first 2 shown]
	v_mul_f64_e32 v[153:154], s[34:35], v[183:184]
	v_fma_f64 v[177:178], v[117:118], s[20:21], -v[205:206]
	v_fma_f64 v[181:182], v[127:128], s[20:21], v[207:208]
	v_fma_f64 v[195:196], v[127:128], s[14:15], -v[137:138]
	v_add_f64_e32 v[94:95], v[163:164], v[94:95]
	v_add_f64_e32 v[92:93], v[161:162], v[92:93]
	v_add_f64_e32 v[74:75], v[78:79], v[74:75]
	v_add_f64_e32 v[72:73], v[76:77], v[72:73]
	v_add_f64_e32 v[64:65], v[239:240], v[64:65]
	v_mul_f64_e32 v[76:77], s[28:29], v[183:184]
	v_add_f64_e32 v[90:91], v[90:91], v[98:99]
	v_add_f64_e32 v[88:89], v[88:89], v[96:97]
	v_mul_f64_e32 v[78:79], s[28:29], v[159:160]
	v_fma_f64 v[183:184], v[117:118], s[2:3], v[80:81]
	v_fma_f64 v[185:186], v[127:128], s[2:3], -v[82:83]
	v_fma_f64 v[80:81], v[117:118], s[2:3], -v[80:81]
	v_fma_f64 v[82:83], v[127:128], s[2:3], v[82:83]
	v_fma_f64 v[193:194], v[117:118], s[14:15], v[84:85]
	v_fma_f64 v[84:85], v[117:118], s[14:15], -v[84:85]
	v_fma_f64 v[117:118], v[127:128], s[14:15], v[137:138]
	v_mul_f64_e32 v[159:160], s[34:35], v[159:160]
	v_add_f64_e32 v[127:128], v[179:180], v[139:140]
	v_add_f64_e32 v[137:138], v[187:188], v[155:156]
	;; [unrolled: 1-line block ×11, first 2 shown]
	v_add_f64_e64 v[125:126], v[135:136], -v[203:204]
	v_fma_f64 v[119:120], v[113:114], s[2:3], -v[241:242]
	v_fma_f64 v[123:124], v[121:122], s[2:3], v[245:246]
	v_fma_f64 v[149:150], v[113:114], s[16:17], v[153:154]
	v_add_f64_e32 v[94:95], v[147:148], v[94:95]
	v_add_f64_e32 v[92:93], v[143:144], v[92:93]
	;; [unrolled: 1-line block ×5, first 2 shown]
	v_fma_f64 v[72:73], v[113:114], s[2:3], v[241:242]
	v_add_f64_e32 v[90:91], v[157:158], v[90:91]
	v_add_f64_e32 v[88:89], v[151:152], v[88:89]
	v_fma_f64 v[141:142], v[121:122], s[10:11], -v[78:79]
	v_fma_f64 v[145:146], v[121:122], s[10:11], v[78:79]
	v_fma_f64 v[74:75], v[121:122], s[2:3], -v[245:246]
	v_fma_f64 v[135:136], v[113:114], s[10:11], v[76:77]
	v_fma_f64 v[76:77], v[113:114], s[10:11], -v[76:77]
	v_fma_f64 v[113:114], v[113:114], s[16:17], -v[153:154]
	;; [unrolled: 1-line block ×3, first 2 shown]
	v_fma_f64 v[121:122], v[121:122], s[16:17], v[159:160]
	v_add_f64_e32 v[78:79], v[165:166], v[127:128]
	v_add_f64_e32 v[127:128], v[173:174], v[137:138]
	;; [unrolled: 1-line block ×29, first 2 shown]
	v_and_b32_e32 v92, 0xffff, v191
	s_delay_alu instid0(VALU_DEP_1)
	v_lshlrev_b32_e32 v92, 4, v92
	v_add_f64_e32 v[2:3], v[117:118], v[2:3]
	v_add_f64_e32 v[0:1], v[143:144], v[0:1]
	;; [unrolled: 1-line block ×3, first 2 shown]
	ds_store_b128 v92, v[104:107] offset:112
	ds_store_b128 v92, v[100:103] offset:128
	;; [unrolled: 1-line block ×9, first 2 shown]
	ds_store_b128 v92, v[0:3]
	ds_store_b128 v92, v[76:79] offset:160
.LBB0_17:
	s_wait_alu 0xfffe
	s_or_b32 exec_lo, exec_lo, s1
	global_wb scope:SCOPE_SE
	s_wait_dscnt 0x0
	s_barrier_signal -1
	s_barrier_wait -1
	global_inv scope:SCOPE_SE
	ds_load_b128 v[0:3], v189 offset:1584
	ds_load_b128 v[4:7], v189 offset:3168
	ds_load_b128 v[64:67], v189 offset:9504
	ds_load_b128 v[68:71], v189 offset:7920
	ds_load_b128 v[72:75], v189 offset:4752
	ds_load_b128 v[76:79], v189 offset:6336
	s_mov_b32 s2, 0x37e14327
	s_mov_b32 s3, 0x3fe948f6
	;; [unrolled: 1-line block ×10, first 2 shown]
	s_wait_dscnt 0x5
	v_mul_f64_e32 v[80:81], v[14:15], v[2:3]
	v_mul_f64_e32 v[14:15], v[14:15], v[0:1]
	s_wait_dscnt 0x4
	v_mul_f64_e32 v[82:83], v[10:11], v[6:7]
	v_mul_f64_e32 v[10:11], v[10:11], v[4:5]
	;; [unrolled: 3-line block ×6, first 2 shown]
	v_fma_f64 v[0:1], v[12:13], v[0:1], v[80:81]
	v_fma_f64 v[2:3], v[12:13], v[2:3], -v[14:15]
	v_fma_f64 v[4:5], v[8:9], v[4:5], v[82:83]
	v_fma_f64 v[6:7], v[8:9], v[6:7], -v[10:11]
	v_fma_f64 v[8:9], v[20:21], v[64:65], v[84:85]
	v_fma_f64 v[10:11], v[20:21], v[66:67], -v[22:23]
	v_fma_f64 v[12:13], v[32:33], v[68:69], v[86:87]
	v_fma_f64 v[14:15], v[32:33], v[70:71], -v[34:35]
	v_fma_f64 v[20:21], v[28:29], v[72:73], v[88:89]
	v_fma_f64 v[22:23], v[28:29], v[74:75], -v[30:31]
	v_fma_f64 v[28:29], v[24:25], v[76:77], v[90:91]
	v_fma_f64 v[24:25], v[24:25], v[78:79], -v[26:27]
	v_add_f64_e32 v[26:27], v[0:1], v[8:9]
	v_add_f64_e32 v[30:31], v[2:3], v[10:11]
	;; [unrolled: 1-line block ×4, first 2 shown]
	v_add_f64_e64 v[4:5], v[4:5], -v[12:13]
	v_add_f64_e64 v[6:7], v[6:7], -v[14:15]
	v_add_f64_e32 v[64:65], v[20:21], v[28:29]
	v_add_f64_e32 v[66:67], v[22:23], v[24:25]
	v_add_f64_e64 v[12:13], v[28:29], -v[20:21]
	v_add_f64_e64 v[14:15], v[24:25], -v[22:23]
	;; [unrolled: 1-line block ×4, first 2 shown]
	v_add_f64_e32 v[0:1], v[32:33], v[26:27]
	v_add_f64_e32 v[2:3], v[34:35], v[30:31]
	v_add_f64_e64 v[20:21], v[26:27], -v[64:65]
	v_add_f64_e64 v[22:23], v[30:31], -v[66:67]
	;; [unrolled: 1-line block ×10, first 2 shown]
	v_add_f64_e32 v[4:5], v[12:13], v[4:5]
	v_add_f64_e32 v[6:7], v[14:15], v[6:7]
	v_add_f64_e64 v[12:13], v[8:9], -v[12:13]
	v_add_f64_e64 v[14:15], v[10:11], -v[14:15]
	v_add_f64_e32 v[64:65], v[64:65], v[0:1]
	v_add_f64_e32 v[66:67], v[66:67], v[2:3]
	ds_load_b128 v[0:3], v189
	global_wb scope:SCOPE_SE
	s_wait_dscnt 0x0
	s_wait_alu 0xfffe
	v_mul_f64_e32 v[20:21], s[2:3], v[20:21]
	v_mul_f64_e32 v[22:23], s[2:3], v[22:23]
	s_mov_b32 s2, 0x429ad128
	v_mul_f64_e32 v[32:33], s[10:11], v[24:25]
	v_mul_f64_e32 v[34:35], s[10:11], v[28:29]
	;; [unrolled: 1-line block ×4, first 2 shown]
	s_mov_b32 s3, 0xbfebfeb5
	s_mov_b32 s14, 0xaaaaaaaa
	s_wait_alu 0xfffe
	v_mul_f64_e32 v[76:77], s[2:3], v[72:73]
	v_mul_f64_e32 v[78:79], s[2:3], v[74:75]
	s_mov_b32 s15, 0xbff2aaaa
	v_add_f64_e32 v[4:5], v[4:5], v[8:9]
	v_add_f64_e32 v[6:7], v[6:7], v[10:11]
	s_barrier_signal -1
	s_barrier_wait -1
	global_inv scope:SCOPE_SE
	v_add_f64_e32 v[0:1], v[0:1], v[64:65]
	v_add_f64_e32 v[2:3], v[2:3], v[66:67]
	v_fma_f64 v[8:9], v[24:25], s[10:11], v[20:21]
	v_fma_f64 v[10:11], v[28:29], s[10:11], v[22:23]
	v_fma_f64 v[24:25], v[26:27], s[16:17], -v[32:33]
	v_fma_f64 v[28:29], v[30:31], s[16:17], -v[34:35]
	s_mov_b32 s17, 0xbfe77f67
	v_fma_f64 v[32:33], v[12:13], s[18:19], v[68:69]
	v_fma_f64 v[34:35], v[14:15], s[18:19], v[70:71]
	s_mov_b32 s19, 0x3fd5d0dc
	v_fma_f64 v[68:69], v[72:73], s[2:3], -v[68:69]
	v_fma_f64 v[70:71], v[74:75], s[2:3], -v[70:71]
	s_wait_alu 0xfffe
	v_fma_f64 v[12:13], v[12:13], s[18:19], -v[76:77]
	v_fma_f64 v[14:15], v[14:15], s[18:19], -v[78:79]
	;; [unrolled: 1-line block ×4, first 2 shown]
	s_mov_b32 s2, 0x37c3f68c
	s_mov_b32 s3, 0xbfdc38aa
	v_fma_f64 v[64:65], v[64:65], s[14:15], v[0:1]
	v_fma_f64 v[66:67], v[66:67], s[14:15], v[2:3]
	s_wait_alu 0xfffe
	v_fma_f64 v[32:33], v[4:5], s[2:3], v[32:33]
	v_fma_f64 v[34:35], v[6:7], s[2:3], v[34:35]
	;; [unrolled: 1-line block ×6, first 2 shown]
	v_add_f64_e32 v[72:73], v[8:9], v[64:65]
	v_add_f64_e32 v[74:75], v[10:11], v[66:67]
	;; [unrolled: 1-line block ×7, first 2 shown]
	v_add_f64_e64 v[6:7], v[74:75], -v[32:33]
	v_add_f64_e32 v[12:13], v[70:71], v[20:21]
	v_add_f64_e64 v[14:15], v[22:23], -v[68:69]
	v_add_f64_e64 v[8:9], v[24:25], -v[30:31]
	v_add_f64_e32 v[10:11], v[26:27], v[28:29]
	v_add_f64_e32 v[24:25], v[30:31], v[24:25]
	v_add_f64_e64 v[26:27], v[28:29], -v[26:27]
	v_add_f64_e64 v[28:29], v[20:21], -v[70:71]
	v_add_f64_e32 v[30:31], v[68:69], v[22:23]
	v_add_f64_e64 v[20:21], v[72:73], -v[34:35]
	v_add_f64_e32 v[22:23], v[32:33], v[74:75]
	ds_store_b128 v192, v[0:3]
	ds_store_b128 v192, v[4:7] offset:176
	ds_store_b128 v192, v[12:15] offset:352
	;; [unrolled: 1-line block ×6, first 2 shown]
	global_wb scope:SCOPE_SE
	s_wait_dscnt 0x0
	s_barrier_signal -1
	s_barrier_wait -1
	global_inv scope:SCOPE_SE
	s_and_saveexec_b32 s1, s0
	s_cbranch_execz .LBB0_19
; %bb.18:
	ds_load_b128 v[0:3], v189
	ds_load_b128 v[4:7], v189 offset:1232
	ds_load_b128 v[12:15], v189 offset:2464
	;; [unrolled: 1-line block ×8, first 2 shown]
.LBB0_19:
	s_wait_alu 0xfffe
	s_or_b32 exec_lo, exec_lo, s1
	s_and_saveexec_b32 s10, s0
	s_cbranch_execz .LBB0_21
; %bb.20:
	s_wait_dscnt 0x4
	v_mul_f64_e32 v[32:33], v[50:51], v[26:27]
	s_wait_dscnt 0x3
	v_mul_f64_e32 v[34:35], v[62:63], v[30:31]
	v_mul_f64_e32 v[62:63], v[62:63], v[28:29]
	;; [unrolled: 1-line block ×4, first 2 shown]
	s_wait_dscnt 0x1
	v_mul_f64_e32 v[66:67], v[58:59], v[104:105]
	v_mul_f64_e32 v[54:55], v[54:55], v[12:13]
	;; [unrolled: 1-line block ×3, first 2 shown]
	s_wait_dscnt 0x0
	v_mul_f64_e32 v[68:69], v[46:47], v[100:101]
	v_mul_f64_e32 v[70:71], v[18:19], v[4:5]
	;; [unrolled: 1-line block ×3, first 2 shown]
	s_mov_b32 s0, 0x8c811c17
	s_mov_b32 s1, 0x3fef838b
	;; [unrolled: 1-line block ×8, first 2 shown]
	v_fma_f64 v[24:25], v[48:49], v[24:25], v[32:33]
	v_fma_f64 v[28:29], v[60:61], v[28:29], v[34:35]
	v_fma_f64 v[30:31], v[60:61], v[30:31], -v[62:63]
	v_fma_f64 v[26:27], v[48:49], v[26:27], -v[50:51]
	v_mul_f64_e32 v[32:33], v[46:47], v[102:103]
	v_fma_f64 v[12:13], v[52:53], v[12:13], v[64:65]
	v_fma_f64 v[34:35], v[56:57], v[106:107], -v[66:67]
	v_fma_f64 v[14:15], v[52:53], v[14:15], -v[54:55]
	v_fma_f64 v[46:47], v[56:57], v[104:105], v[58:59]
	v_fma_f64 v[48:49], v[44:45], v[102:103], -v[68:69]
	v_fma_f64 v[6:7], v[16:17], v[6:7], -v[70:71]
	v_fma_f64 v[4:5], v[16:17], v[4:5], v[18:19]
	v_mul_f64_e32 v[18:19], v[38:39], v[10:11]
	v_mul_f64_e32 v[38:39], v[38:39], v[8:9]
	v_add_f64_e64 v[50:51], v[24:25], -v[28:29]
	v_add_f64_e32 v[56:57], v[24:25], v[28:29]
	v_add_f64_e64 v[52:53], v[26:27], -v[30:31]
	v_fma_f64 v[16:17], v[44:45], v[100:101], v[32:33]
	v_mul_f64_e32 v[32:33], v[42:43], v[20:21]
	v_mul_f64_e32 v[42:43], v[42:43], v[22:23]
	v_add_f64_e32 v[44:45], v[14:15], v[34:35]
	v_add_f64_e32 v[54:55], v[12:13], v[46:47]
	v_add_f64_e64 v[12:13], v[12:13], -v[46:47]
	v_add_f64_e64 v[14:15], v[14:15], -v[34:35]
	v_add_f64_e32 v[46:47], v[26:27], v[30:31]
	v_add_f64_e32 v[58:59], v[6:7], v[48:49]
	v_add_f64_e64 v[6:7], v[6:7], -v[48:49]
	v_fma_f64 v[8:9], v[36:37], v[8:9], v[18:19]
	v_fma_f64 v[10:11], v[36:37], v[10:11], -v[38:39]
	s_wait_alu 0xfffe
	v_mul_f64_e32 v[34:35], s[0:1], v[50:51]
	v_fma_f64 v[38:39], v[56:57], s[14:15], v[0:1]
	v_mul_f64_e32 v[60:61], s[0:1], v[52:53]
	v_add_f64_e32 v[62:63], v[4:5], v[16:17]
	v_add_f64_e64 v[4:5], v[4:5], -v[16:17]
	v_fma_f64 v[16:17], v[40:41], v[22:23], -v[32:33]
	v_fma_f64 v[18:19], v[40:41], v[20:21], v[42:43]
	v_fma_f64 v[20:21], v[44:45], s[14:15], v[2:3]
	;; [unrolled: 1-line block ×3, first 2 shown]
	v_mul_f64_e32 v[32:33], s[2:3], v[50:51]
	v_mul_f64_e32 v[40:41], s[2:3], v[52:53]
	v_fma_f64 v[36:37], v[46:47], s[14:15], v[2:3]
	v_fma_f64 v[42:43], v[58:59], s[14:15], v[2:3]
	v_add_f64_e32 v[72:73], v[44:45], v[58:59]
	v_add_f64_e32 v[78:79], v[52:53], v[6:7]
	v_fma_f64 v[34:35], v[12:13], s[2:3], -v[34:35]
	v_fma_f64 v[48:49], v[14:15], s[2:3], -v[60:61]
	s_mov_b32 s3, 0x3fe491b7
	v_fma_f64 v[60:61], v[62:63], s[14:15], v[0:1]
	s_wait_alu 0xfffe
	v_mul_f64_e32 v[64:65], s[2:3], v[4:5]
	v_mul_f64_e32 v[66:67], s[2:3], v[6:7]
	v_add_f64_e32 v[68:69], v[10:11], v[16:17]
	v_add_f64_e32 v[70:71], v[8:9], v[18:19]
	;; [unrolled: 1-line block ×3, first 2 shown]
	s_mov_b32 s2, 0x7e0b738b
	s_mov_b32 s3, 0x3fc63a1a
	v_add_f64_e64 v[8:9], v[8:9], -v[18:19]
	s_wait_alu 0xfffe
	v_fma_f64 v[18:19], v[46:47], s[2:3], v[20:21]
	v_add_f64_e64 v[10:11], v[10:11], -v[16:17]
	v_fma_f64 v[16:17], v[56:57], s[2:3], v[22:23]
	v_fma_f64 v[20:21], v[4:5], s[0:1], v[32:33]
	;; [unrolled: 1-line block ×6, first 2 shown]
	s_mov_b32 s14, 0x748a0bf8
	s_mov_b32 s15, 0x3fd5e3a8
	v_fma_f64 v[40:41], v[54:55], s[2:3], v[60:61]
	v_fma_f64 v[42:43], v[12:13], s[0:1], v[64:65]
	;; [unrolled: 1-line block ×3, first 2 shown]
	v_add_f64_e32 v[80:81], v[68:69], v[72:73]
	s_mov_b32 s0, 0xe8584cab
	v_add_f64_e32 v[82:83], v[70:71], v[74:75]
	s_mov_b32 s1, 0x3febb67a
	s_mov_b32 s3, 0xbfebb67a
	s_wait_alu 0xfffe
	s_mov_b32 s2, s0
	v_fma_f64 v[34:35], v[8:9], s[0:1], v[34:35]
	v_fma_f64 v[18:19], v[68:69], -0.5, v[18:19]
	v_fma_f64 v[48:49], v[10:11], s[0:1], v[48:49]
	v_fma_f64 v[16:17], v[70:71], -0.5, v[16:17]
	v_add_f64_e32 v[64:65], v[50:51], v[4:5]
	v_add_f64_e32 v[66:67], v[2:3], v[68:69]
	;; [unrolled: 1-line block ×5, first 2 shown]
	s_wait_alu 0xfffe
	v_fma_f64 v[20:21], v[8:9], s[2:3], v[20:21]
	v_fma_f64 v[22:23], v[68:69], -0.5, v[22:23]
	v_fma_f64 v[32:33], v[70:71], -0.5, v[32:33]
	v_fma_f64 v[36:37], v[10:11], s[2:3], v[36:37]
	v_fma_f64 v[38:39], v[68:69], -0.5, v[38:39]
	v_fma_f64 v[40:41], v[70:71], -0.5, v[40:41]
	v_fma_f64 v[8:9], v[8:9], s[0:1], v[42:43]
	v_fma_f64 v[10:11], v[10:11], s[0:1], v[60:61]
	v_add_f64_e32 v[26:27], v[26:27], v[80:81]
	v_add_f64_e64 v[60:61], v[78:79], -v[14:15]
	v_add_f64_e32 v[24:25], v[24:25], v[82:83]
	v_fma_f64 v[34:35], v[4:5], s[14:15], v[34:35]
	v_fma_f64 v[18:19], v[58:59], s[16:17], v[18:19]
	;; [unrolled: 1-line block ×4, first 2 shown]
	v_add_f64_e64 v[42:43], v[64:65], -v[12:13]
	v_fma_f64 v[64:65], v[72:73], -0.5, v[66:67]
	v_fma_f64 v[66:67], v[74:75], -0.5, v[76:77]
	v_fma_f64 v[58:59], v[12:13], s[14:15], v[20:21]
	v_fma_f64 v[12:13], v[44:45], s[16:17], v[22:23]
	v_fma_f64 v[20:21], v[54:55], s[16:17], v[32:33]
	v_fma_f64 v[32:33], v[14:15], s[14:15], v[36:37]
	v_fma_f64 v[22:23], v[46:47], s[16:17], v[38:39]
	v_fma_f64 v[36:37], v[56:57], s[16:17], v[40:41]
	v_fma_f64 v[38:39], v[50:51], s[14:15], v[8:9]
	v_fma_f64 v[40:41], v[52:53], s[14:15], v[10:11]
	v_add_f64_e32 v[26:27], v[30:31], v[26:27]
	v_mul_f64_e32 v[46:47], s[0:1], v[60:61]
	v_add_f64_e32 v[24:25], v[28:29], v[24:25]
	v_add_f64_e32 v[10:11], v[34:35], v[18:19]
	v_add_f64_e64 v[8:9], v[16:17], -v[48:49]
	v_mul_f64_e32 v[44:45], s[0:1], v[42:43]
	v_fma_f64 v[6:7], v[42:43], s[0:1], v[64:65]
	v_fma_f64 v[4:5], v[60:61], s[2:3], v[66:67]
	v_add_f64_e32 v[14:15], v[58:59], v[12:13]
	v_add_f64_e64 v[12:13], v[20:21], -v[32:33]
	v_add_f64_e32 v[18:19], v[38:39], v[22:23]
	v_add_f64_e64 v[16:17], v[36:37], -v[40:41]
	v_add_f64_e32 v[2:3], v[2:3], v[26:27]
	v_add_f64_e32 v[0:1], v[0:1], v[24:25]
	v_fma_f64 v[26:27], v[34:35], -2.0, v[10:11]
	v_fma_f64 v[24:25], v[48:49], 2.0, v[8:9]
	v_fma_f64 v[22:23], v[44:45], -2.0, v[6:7]
	v_fma_f64 v[20:21], v[46:47], 2.0, v[4:5]
	;; [unrolled: 2-line block ×4, first 2 shown]
	ds_store_b128 v189, v[0:3]
	ds_store_b128 v189, v[16:19] offset:1232
	ds_store_b128 v189, v[12:15] offset:2464
	;; [unrolled: 1-line block ×8, first 2 shown]
.LBB0_21:
	s_wait_alu 0xfffe
	s_or_b32 exec_lo, exec_lo, s10
	global_wb scope:SCOPE_SE
	s_wait_dscnt 0x0
	s_barrier_signal -1
	s_barrier_wait -1
	global_inv scope:SCOPE_SE
	s_and_b32 exec_lo, exec_lo, vcc_lo
	s_cbranch_execz .LBB0_23
; %bb.22:
	s_clause 0xa
	global_load_b128 v[0:3], v189, s[12:13]
	global_load_b128 v[4:7], v189, s[12:13] offset:1008
	global_load_b128 v[8:11], v189, s[12:13] offset:2016
	;; [unrolled: 1-line block ×10, first 2 shown]
	v_mad_co_u64_u32 v[88:89], null, s6, v108, 0
	v_mad_co_u64_u32 v[90:91], null, s4, v190, 0
	ds_load_b128 v[44:47], v189
	ds_load_b128 v[48:51], v189 offset:1008
	ds_load_b128 v[52:55], v189 offset:2016
	;; [unrolled: 1-line block ×3, first 2 shown]
	s_mul_u64 s[0:1], s[4:5], 0x3f0
	s_mov_b32 s2, 0x5e918c
	v_mov_b32_e32 v60, v89
	s_mov_b32 s3, 0x3f57a463
	v_mov_b32_e32 v68, v91
	s_delay_alu instid0(VALU_DEP_2)
	v_mad_co_u64_u32 v[76:77], null, s7, v108, v[60:61]
	ds_load_b128 v[60:63], v189 offset:4032
	ds_load_b128 v[64:67], v189 offset:5040
	v_mad_co_u64_u32 v[91:92], null, s5, v190, v[68:69]
	ds_load_b128 v[68:71], v189 offset:6048
	ds_load_b128 v[72:75], v189 offset:7056
	v_mov_b32_e32 v89, v76
	ds_load_b128 v[76:79], v189 offset:8064
	ds_load_b128 v[80:83], v189 offset:9072
	ds_load_b128 v[84:87], v189 offset:10080
	v_lshlrev_b64_e32 v[90:91], 4, v[90:91]
	v_lshlrev_b64_e32 v[88:89], 4, v[88:89]
	s_delay_alu instid0(VALU_DEP_1) | instskip(NEXT) | instid1(VALU_DEP_2)
	v_add_co_u32 v88, vcc_lo, s8, v88
	v_add_co_ci_u32_e32 v89, vcc_lo, s9, v89, vcc_lo
	s_delay_alu instid0(VALU_DEP_2) | instskip(SKIP_1) | instid1(VALU_DEP_2)
	v_add_co_u32 v88, vcc_lo, v88, v90
	s_wait_alu 0xfffd
	v_add_co_ci_u32_e32 v89, vcc_lo, v89, v91, vcc_lo
	s_wait_alu 0xfffe
	s_delay_alu instid0(VALU_DEP_2) | instskip(SKIP_1) | instid1(VALU_DEP_2)
	v_add_co_u32 v90, vcc_lo, v88, s0
	s_wait_alu 0xfffd
	v_add_co_ci_u32_e32 v91, vcc_lo, s1, v89, vcc_lo
	s_wait_loadcnt_dscnt 0xa0a
	v_mul_f64_e32 v[92:93], v[46:47], v[2:3]
	v_mul_f64_e32 v[2:3], v[44:45], v[2:3]
	s_wait_loadcnt_dscnt 0x909
	v_mul_f64_e32 v[94:95], v[50:51], v[6:7]
	v_mul_f64_e32 v[6:7], v[48:49], v[6:7]
	;; [unrolled: 3-line block ×11, first 2 shown]
	v_fma_f64 v[44:45], v[44:45], v[0:1], v[92:93]
	v_fma_f64 v[2:3], v[0:1], v[46:47], -v[2:3]
	v_fma_f64 v[46:47], v[48:49], v[4:5], v[94:95]
	v_fma_f64 v[6:7], v[4:5], v[50:51], -v[6:7]
	;; [unrolled: 2-line block ×11, first 2 shown]
	v_add_co_u32 v66, vcc_lo, v90, s0
	s_wait_alu 0xfffd
	v_add_co_ci_u32_e32 v67, vcc_lo, s1, v91, vcc_lo
	s_delay_alu instid0(VALU_DEP_2) | instskip(SKIP_1) | instid1(VALU_DEP_2)
	v_add_co_u32 v68, vcc_lo, v66, s0
	s_wait_alu 0xfffd
	v_add_co_ci_u32_e32 v69, vcc_lo, s1, v67, vcc_lo
	s_delay_alu instid0(VALU_DEP_2) | instskip(SKIP_1) | instid1(VALU_DEP_2)
	v_add_co_u32 v70, vcc_lo, v68, s0
	s_wait_alu 0xfffd
	v_add_co_ci_u32_e32 v71, vcc_lo, s1, v69, vcc_lo
	v_mul_f64_e32 v[0:1], s[2:3], v[44:45]
	v_mul_f64_e32 v[2:3], s[2:3], v[2:3]
	v_mul_f64_e32 v[4:5], s[2:3], v[46:47]
	v_mul_f64_e32 v[6:7], s[2:3], v[6:7]
	v_mul_f64_e32 v[8:9], s[2:3], v[48:49]
	v_mul_f64_e32 v[10:11], s[2:3], v[10:11]
	v_mul_f64_e32 v[12:13], s[2:3], v[50:51]
	v_mul_f64_e32 v[14:15], s[2:3], v[14:15]
	v_mul_f64_e32 v[16:17], s[2:3], v[52:53]
	v_mul_f64_e32 v[18:19], s[2:3], v[18:19]
	v_mul_f64_e32 v[20:21], s[2:3], v[54:55]
	v_mul_f64_e32 v[22:23], s[2:3], v[22:23]
	v_mul_f64_e32 v[24:25], s[2:3], v[56:57]
	v_mul_f64_e32 v[26:27], s[2:3], v[26:27]
	v_mul_f64_e32 v[28:29], s[2:3], v[58:59]
	v_mul_f64_e32 v[30:31], s[2:3], v[30:31]
	v_mul_f64_e32 v[32:33], s[2:3], v[60:61]
	v_mul_f64_e32 v[34:35], s[2:3], v[34:35]
	v_mul_f64_e32 v[36:37], s[2:3], v[62:63]
	v_mul_f64_e32 v[38:39], s[2:3], v[38:39]
	v_mul_f64_e32 v[40:41], s[2:3], v[64:65]
	v_mul_f64_e32 v[42:43], s[2:3], v[42:43]
	v_add_co_u32 v44, vcc_lo, v70, s0
	s_wait_alu 0xfffd
	v_add_co_ci_u32_e32 v45, vcc_lo, s1, v71, vcc_lo
	s_delay_alu instid0(VALU_DEP_2) | instskip(SKIP_1) | instid1(VALU_DEP_2)
	v_add_co_u32 v46, vcc_lo, v44, s0
	s_wait_alu 0xfffd
	v_add_co_ci_u32_e32 v47, vcc_lo, s1, v45, vcc_lo
	s_delay_alu instid0(VALU_DEP_2) | instskip(SKIP_1) | instid1(VALU_DEP_2)
	;; [unrolled: 4-line block ×5, first 2 shown]
	v_add_co_u32 v54, vcc_lo, v52, s0
	s_wait_alu 0xfffd
	v_add_co_ci_u32_e32 v55, vcc_lo, s1, v53, vcc_lo
	s_clause 0x4
	global_store_b128 v[88:89], v[0:3], off
	global_store_b128 v[90:91], v[4:7], off
	;; [unrolled: 1-line block ×11, first 2 shown]
.LBB0_23:
	s_nop 0
	s_sendmsg sendmsg(MSG_DEALLOC_VGPRS)
	s_endpgm
	.section	.rodata,"a",@progbits
	.p2align	6, 0x0
	.amdhsa_kernel bluestein_single_fwd_len693_dim1_dp_op_CI_CI
		.amdhsa_group_segment_fixed_size 11088
		.amdhsa_private_segment_fixed_size 0
		.amdhsa_kernarg_size 104
		.amdhsa_user_sgpr_count 2
		.amdhsa_user_sgpr_dispatch_ptr 0
		.amdhsa_user_sgpr_queue_ptr 0
		.amdhsa_user_sgpr_kernarg_segment_ptr 1
		.amdhsa_user_sgpr_dispatch_id 0
		.amdhsa_user_sgpr_private_segment_size 0
		.amdhsa_wavefront_size32 1
		.amdhsa_uses_dynamic_stack 0
		.amdhsa_enable_private_segment 0
		.amdhsa_system_sgpr_workgroup_id_x 1
		.amdhsa_system_sgpr_workgroup_id_y 0
		.amdhsa_system_sgpr_workgroup_id_z 0
		.amdhsa_system_sgpr_workgroup_info 0
		.amdhsa_system_vgpr_workitem_id 0
		.amdhsa_next_free_vgpr 253
		.amdhsa_next_free_sgpr 38
		.amdhsa_reserve_vcc 1
		.amdhsa_float_round_mode_32 0
		.amdhsa_float_round_mode_16_64 0
		.amdhsa_float_denorm_mode_32 3
		.amdhsa_float_denorm_mode_16_64 3
		.amdhsa_fp16_overflow 0
		.amdhsa_workgroup_processor_mode 1
		.amdhsa_memory_ordered 1
		.amdhsa_forward_progress 0
		.amdhsa_round_robin_scheduling 0
		.amdhsa_exception_fp_ieee_invalid_op 0
		.amdhsa_exception_fp_denorm_src 0
		.amdhsa_exception_fp_ieee_div_zero 0
		.amdhsa_exception_fp_ieee_overflow 0
		.amdhsa_exception_fp_ieee_underflow 0
		.amdhsa_exception_fp_ieee_inexact 0
		.amdhsa_exception_int_div_zero 0
	.end_amdhsa_kernel
	.text
.Lfunc_end0:
	.size	bluestein_single_fwd_len693_dim1_dp_op_CI_CI, .Lfunc_end0-bluestein_single_fwd_len693_dim1_dp_op_CI_CI
                                        ; -- End function
	.section	.AMDGPU.csdata,"",@progbits
; Kernel info:
; codeLenInByte = 12304
; NumSgprs: 40
; NumVgprs: 253
; ScratchSize: 0
; MemoryBound: 0
; FloatMode: 240
; IeeeMode: 1
; LDSByteSize: 11088 bytes/workgroup (compile time only)
; SGPRBlocks: 4
; VGPRBlocks: 31
; NumSGPRsForWavesPerEU: 40
; NumVGPRsForWavesPerEU: 253
; Occupancy: 5
; WaveLimiterHint : 1
; COMPUTE_PGM_RSRC2:SCRATCH_EN: 0
; COMPUTE_PGM_RSRC2:USER_SGPR: 2
; COMPUTE_PGM_RSRC2:TRAP_HANDLER: 0
; COMPUTE_PGM_RSRC2:TGID_X_EN: 1
; COMPUTE_PGM_RSRC2:TGID_Y_EN: 0
; COMPUTE_PGM_RSRC2:TGID_Z_EN: 0
; COMPUTE_PGM_RSRC2:TIDIG_COMP_CNT: 0
	.text
	.p2alignl 7, 3214868480
	.fill 96, 4, 3214868480
	.type	__hip_cuid_f1a69cbdeb6be900,@object ; @__hip_cuid_f1a69cbdeb6be900
	.section	.bss,"aw",@nobits
	.globl	__hip_cuid_f1a69cbdeb6be900
__hip_cuid_f1a69cbdeb6be900:
	.byte	0                               ; 0x0
	.size	__hip_cuid_f1a69cbdeb6be900, 1

	.ident	"AMD clang version 19.0.0git (https://github.com/RadeonOpenCompute/llvm-project roc-6.4.0 25133 c7fe45cf4b819c5991fe208aaa96edf142730f1d)"
	.section	".note.GNU-stack","",@progbits
	.addrsig
	.addrsig_sym __hip_cuid_f1a69cbdeb6be900
	.amdgpu_metadata
---
amdhsa.kernels:
  - .args:
      - .actual_access:  read_only
        .address_space:  global
        .offset:         0
        .size:           8
        .value_kind:     global_buffer
      - .actual_access:  read_only
        .address_space:  global
        .offset:         8
        .size:           8
        .value_kind:     global_buffer
      - .actual_access:  read_only
        .address_space:  global
        .offset:         16
        .size:           8
        .value_kind:     global_buffer
      - .actual_access:  read_only
        .address_space:  global
        .offset:         24
        .size:           8
        .value_kind:     global_buffer
      - .actual_access:  read_only
        .address_space:  global
        .offset:         32
        .size:           8
        .value_kind:     global_buffer
      - .offset:         40
        .size:           8
        .value_kind:     by_value
      - .address_space:  global
        .offset:         48
        .size:           8
        .value_kind:     global_buffer
      - .address_space:  global
        .offset:         56
        .size:           8
        .value_kind:     global_buffer
      - .address_space:  global
        .offset:         64
        .size:           8
        .value_kind:     global_buffer
      - .address_space:  global
        .offset:         72
        .size:           8
        .value_kind:     global_buffer
      - .offset:         80
        .size:           4
        .value_kind:     by_value
      - .address_space:  global
        .offset:         88
        .size:           8
        .value_kind:     global_buffer
      - .address_space:  global
        .offset:         96
        .size:           8
        .value_kind:     global_buffer
    .group_segment_fixed_size: 11088
    .kernarg_segment_align: 8
    .kernarg_segment_size: 104
    .language:       OpenCL C
    .language_version:
      - 2
      - 0
    .max_flat_workgroup_size: 99
    .name:           bluestein_single_fwd_len693_dim1_dp_op_CI_CI
    .private_segment_fixed_size: 0
    .sgpr_count:     40
    .sgpr_spill_count: 0
    .symbol:         bluestein_single_fwd_len693_dim1_dp_op_CI_CI.kd
    .uniform_work_group_size: 1
    .uses_dynamic_stack: false
    .vgpr_count:     253
    .vgpr_spill_count: 0
    .wavefront_size: 32
    .workgroup_processor_mode: 1
amdhsa.target:   amdgcn-amd-amdhsa--gfx1201
amdhsa.version:
  - 1
  - 2
...

	.end_amdgpu_metadata
